;; amdgpu-corpus repo=ROCm/rocFFT kind=compiled arch=gfx1201 opt=O3
	.text
	.amdgcn_target "amdgcn-amd-amdhsa--gfx1201"
	.amdhsa_code_object_version 6
	.protected	fft_rtc_fwd_len1680_factors_2_2_2_2_3_7_5_wgs_112_tpt_112_halfLds_dp_ip_CI_sbrr_dirReg ; -- Begin function fft_rtc_fwd_len1680_factors_2_2_2_2_3_7_5_wgs_112_tpt_112_halfLds_dp_ip_CI_sbrr_dirReg
	.globl	fft_rtc_fwd_len1680_factors_2_2_2_2_3_7_5_wgs_112_tpt_112_halfLds_dp_ip_CI_sbrr_dirReg
	.p2align	8
	.type	fft_rtc_fwd_len1680_factors_2_2_2_2_3_7_5_wgs_112_tpt_112_halfLds_dp_ip_CI_sbrr_dirReg,@function
fft_rtc_fwd_len1680_factors_2_2_2_2_3_7_5_wgs_112_tpt_112_halfLds_dp_ip_CI_sbrr_dirReg: ; @fft_rtc_fwd_len1680_factors_2_2_2_2_3_7_5_wgs_112_tpt_112_halfLds_dp_ip_CI_sbrr_dirReg
; %bb.0:
	s_clause 0x2
	s_load_b64 s[12:13], s[0:1], 0x18
	s_load_b128 s[4:7], s[0:1], 0x0
	s_load_b64 s[10:11], s[0:1], 0x50
	v_mul_u32_u24_e32 v1, 0x24a, v0
	v_mov_b32_e32 v3, 0
	s_delay_alu instid0(VALU_DEP_2) | instskip(NEXT) | instid1(VALU_DEP_1)
	v_lshrrev_b32_e32 v1, 16, v1
	v_add_nc_u32_e32 v5, ttmp9, v1
	v_mov_b32_e32 v1, 0
	v_mov_b32_e32 v2, 0
	;; [unrolled: 1-line block ×3, first 2 shown]
	s_wait_kmcnt 0x0
	s_load_b64 s[8:9], s[12:13], 0x0
	v_cmp_lt_u64_e64 s2, s[6:7], 2
	s_delay_alu instid0(VALU_DEP_1)
	s_and_b32 vcc_lo, exec_lo, s2
	s_cbranch_vccnz .LBB0_8
; %bb.1:
	s_load_b64 s[2:3], s[0:1], 0x10
	v_mov_b32_e32 v1, 0
	v_mov_b32_e32 v2, 0
	s_add_nc_u64 s[14:15], s[12:13], 8
	s_mov_b64 s[16:17], 1
	s_wait_kmcnt 0x0
	s_add_nc_u64 s[18:19], s[2:3], 8
	s_mov_b32 s3, 0
.LBB0_2:                                ; =>This Inner Loop Header: Depth=1
	s_load_b64 s[20:21], s[18:19], 0x0
                                        ; implicit-def: $vgpr7_vgpr8
	s_mov_b32 s2, exec_lo
	s_wait_kmcnt 0x0
	v_or_b32_e32 v4, s21, v6
	s_delay_alu instid0(VALU_DEP_1)
	v_cmpx_ne_u64_e32 0, v[3:4]
	s_wait_alu 0xfffe
	s_xor_b32 s22, exec_lo, s2
	s_cbranch_execz .LBB0_4
; %bb.3:                                ;   in Loop: Header=BB0_2 Depth=1
	s_cvt_f32_u32 s2, s20
	s_cvt_f32_u32 s23, s21
	s_sub_nc_u64 s[26:27], 0, s[20:21]
	s_wait_alu 0xfffe
	s_delay_alu instid0(SALU_CYCLE_1) | instskip(SKIP_1) | instid1(SALU_CYCLE_2)
	s_fmamk_f32 s2, s23, 0x4f800000, s2
	s_wait_alu 0xfffe
	v_s_rcp_f32 s2, s2
	s_delay_alu instid0(TRANS32_DEP_1) | instskip(SKIP_1) | instid1(SALU_CYCLE_2)
	s_mul_f32 s2, s2, 0x5f7ffffc
	s_wait_alu 0xfffe
	s_mul_f32 s23, s2, 0x2f800000
	s_wait_alu 0xfffe
	s_delay_alu instid0(SALU_CYCLE_2) | instskip(SKIP_1) | instid1(SALU_CYCLE_2)
	s_trunc_f32 s23, s23
	s_wait_alu 0xfffe
	s_fmamk_f32 s2, s23, 0xcf800000, s2
	s_cvt_u32_f32 s25, s23
	s_wait_alu 0xfffe
	s_delay_alu instid0(SALU_CYCLE_1) | instskip(SKIP_1) | instid1(SALU_CYCLE_2)
	s_cvt_u32_f32 s24, s2
	s_wait_alu 0xfffe
	s_mul_u64 s[28:29], s[26:27], s[24:25]
	s_wait_alu 0xfffe
	s_mul_hi_u32 s31, s24, s29
	s_mul_i32 s30, s24, s29
	s_mul_hi_u32 s2, s24, s28
	s_mul_i32 s33, s25, s28
	s_wait_alu 0xfffe
	s_add_nc_u64 s[30:31], s[2:3], s[30:31]
	s_mul_hi_u32 s23, s25, s28
	s_mul_hi_u32 s34, s25, s29
	s_add_co_u32 s2, s30, s33
	s_wait_alu 0xfffe
	s_add_co_ci_u32 s2, s31, s23
	s_mul_i32 s28, s25, s29
	s_add_co_ci_u32 s29, s34, 0
	s_wait_alu 0xfffe
	s_add_nc_u64 s[28:29], s[2:3], s[28:29]
	s_wait_alu 0xfffe
	v_add_co_u32 v4, s2, s24, s28
	s_delay_alu instid0(VALU_DEP_1) | instskip(SKIP_1) | instid1(VALU_DEP_1)
	s_cmp_lg_u32 s2, 0
	s_add_co_ci_u32 s25, s25, s29
	v_readfirstlane_b32 s24, v4
	s_wait_alu 0xfffe
	s_delay_alu instid0(VALU_DEP_1)
	s_mul_u64 s[26:27], s[26:27], s[24:25]
	s_wait_alu 0xfffe
	s_mul_hi_u32 s29, s24, s27
	s_mul_i32 s28, s24, s27
	s_mul_hi_u32 s2, s24, s26
	s_mul_i32 s30, s25, s26
	s_wait_alu 0xfffe
	s_add_nc_u64 s[28:29], s[2:3], s[28:29]
	s_mul_hi_u32 s23, s25, s26
	s_mul_hi_u32 s24, s25, s27
	s_wait_alu 0xfffe
	s_add_co_u32 s2, s28, s30
	s_add_co_ci_u32 s2, s29, s23
	s_mul_i32 s26, s25, s27
	s_add_co_ci_u32 s27, s24, 0
	s_wait_alu 0xfffe
	s_add_nc_u64 s[26:27], s[2:3], s[26:27]
	s_wait_alu 0xfffe
	v_add_co_u32 v4, s2, v4, s26
	s_delay_alu instid0(VALU_DEP_1) | instskip(SKIP_1) | instid1(VALU_DEP_1)
	s_cmp_lg_u32 s2, 0
	s_add_co_ci_u32 s2, s25, s27
	v_mul_hi_u32 v13, v5, v4
	s_wait_alu 0xfffe
	v_mad_co_u64_u32 v[7:8], null, v5, s2, 0
	v_mad_co_u64_u32 v[9:10], null, v6, v4, 0
	;; [unrolled: 1-line block ×3, first 2 shown]
	s_delay_alu instid0(VALU_DEP_3) | instskip(SKIP_1) | instid1(VALU_DEP_4)
	v_add_co_u32 v4, vcc_lo, v13, v7
	s_wait_alu 0xfffd
	v_add_co_ci_u32_e32 v7, vcc_lo, 0, v8, vcc_lo
	s_delay_alu instid0(VALU_DEP_2) | instskip(SKIP_1) | instid1(VALU_DEP_2)
	v_add_co_u32 v4, vcc_lo, v4, v9
	s_wait_alu 0xfffd
	v_add_co_ci_u32_e32 v4, vcc_lo, v7, v10, vcc_lo
	s_wait_alu 0xfffd
	v_add_co_ci_u32_e32 v7, vcc_lo, 0, v12, vcc_lo
	s_delay_alu instid0(VALU_DEP_2) | instskip(SKIP_1) | instid1(VALU_DEP_2)
	v_add_co_u32 v4, vcc_lo, v4, v11
	s_wait_alu 0xfffd
	v_add_co_ci_u32_e32 v9, vcc_lo, 0, v7, vcc_lo
	s_delay_alu instid0(VALU_DEP_2) | instskip(SKIP_1) | instid1(VALU_DEP_3)
	v_mul_lo_u32 v10, s21, v4
	v_mad_co_u64_u32 v[7:8], null, s20, v4, 0
	v_mul_lo_u32 v11, s20, v9
	s_delay_alu instid0(VALU_DEP_2) | instskip(NEXT) | instid1(VALU_DEP_2)
	v_sub_co_u32 v7, vcc_lo, v5, v7
	v_add3_u32 v8, v8, v11, v10
	s_delay_alu instid0(VALU_DEP_1) | instskip(SKIP_1) | instid1(VALU_DEP_1)
	v_sub_nc_u32_e32 v10, v6, v8
	s_wait_alu 0xfffd
	v_subrev_co_ci_u32_e64 v10, s2, s21, v10, vcc_lo
	v_add_co_u32 v11, s2, v4, 2
	s_wait_alu 0xf1ff
	v_add_co_ci_u32_e64 v12, s2, 0, v9, s2
	v_sub_co_u32 v13, s2, v7, s20
	v_sub_co_ci_u32_e32 v8, vcc_lo, v6, v8, vcc_lo
	s_wait_alu 0xf1ff
	v_subrev_co_ci_u32_e64 v10, s2, 0, v10, s2
	s_delay_alu instid0(VALU_DEP_3) | instskip(NEXT) | instid1(VALU_DEP_3)
	v_cmp_le_u32_e32 vcc_lo, s20, v13
	v_cmp_eq_u32_e64 s2, s21, v8
	s_wait_alu 0xfffd
	v_cndmask_b32_e64 v13, 0, -1, vcc_lo
	v_cmp_le_u32_e32 vcc_lo, s21, v10
	s_wait_alu 0xfffd
	v_cndmask_b32_e64 v14, 0, -1, vcc_lo
	v_cmp_le_u32_e32 vcc_lo, s20, v7
	;; [unrolled: 3-line block ×3, first 2 shown]
	s_wait_alu 0xfffd
	v_cndmask_b32_e64 v15, 0, -1, vcc_lo
	v_cmp_eq_u32_e32 vcc_lo, s21, v10
	s_wait_alu 0xf1ff
	s_delay_alu instid0(VALU_DEP_2)
	v_cndmask_b32_e64 v7, v15, v7, s2
	s_wait_alu 0xfffd
	v_cndmask_b32_e32 v10, v14, v13, vcc_lo
	v_add_co_u32 v13, vcc_lo, v4, 1
	s_wait_alu 0xfffd
	v_add_co_ci_u32_e32 v14, vcc_lo, 0, v9, vcc_lo
	s_delay_alu instid0(VALU_DEP_3) | instskip(SKIP_2) | instid1(VALU_DEP_3)
	v_cmp_ne_u32_e32 vcc_lo, 0, v10
	s_wait_alu 0xfffd
	v_cndmask_b32_e32 v10, v13, v11, vcc_lo
	v_cndmask_b32_e32 v8, v14, v12, vcc_lo
	v_cmp_ne_u32_e32 vcc_lo, 0, v7
	s_wait_alu 0xfffd
	s_delay_alu instid0(VALU_DEP_2)
	v_dual_cndmask_b32 v7, v4, v10 :: v_dual_cndmask_b32 v8, v9, v8
.LBB0_4:                                ;   in Loop: Header=BB0_2 Depth=1
	s_wait_alu 0xfffe
	s_and_not1_saveexec_b32 s2, s22
	s_cbranch_execz .LBB0_6
; %bb.5:                                ;   in Loop: Header=BB0_2 Depth=1
	v_cvt_f32_u32_e32 v4, s20
	s_sub_co_i32 s22, 0, s20
	s_delay_alu instid0(VALU_DEP_1) | instskip(NEXT) | instid1(TRANS32_DEP_1)
	v_rcp_iflag_f32_e32 v4, v4
	v_mul_f32_e32 v4, 0x4f7ffffe, v4
	s_delay_alu instid0(VALU_DEP_1) | instskip(SKIP_1) | instid1(VALU_DEP_1)
	v_cvt_u32_f32_e32 v4, v4
	s_wait_alu 0xfffe
	v_mul_lo_u32 v7, s22, v4
	s_delay_alu instid0(VALU_DEP_1) | instskip(NEXT) | instid1(VALU_DEP_1)
	v_mul_hi_u32 v7, v4, v7
	v_add_nc_u32_e32 v4, v4, v7
	s_delay_alu instid0(VALU_DEP_1) | instskip(NEXT) | instid1(VALU_DEP_1)
	v_mul_hi_u32 v4, v5, v4
	v_mul_lo_u32 v7, v4, s20
	v_add_nc_u32_e32 v8, 1, v4
	s_delay_alu instid0(VALU_DEP_2) | instskip(NEXT) | instid1(VALU_DEP_1)
	v_sub_nc_u32_e32 v7, v5, v7
	v_subrev_nc_u32_e32 v9, s20, v7
	v_cmp_le_u32_e32 vcc_lo, s20, v7
	s_wait_alu 0xfffd
	s_delay_alu instid0(VALU_DEP_2) | instskip(NEXT) | instid1(VALU_DEP_1)
	v_dual_cndmask_b32 v7, v7, v9 :: v_dual_cndmask_b32 v4, v4, v8
	v_cmp_le_u32_e32 vcc_lo, s20, v7
	s_delay_alu instid0(VALU_DEP_2) | instskip(SKIP_1) | instid1(VALU_DEP_1)
	v_add_nc_u32_e32 v8, 1, v4
	s_wait_alu 0xfffd
	v_dual_cndmask_b32 v7, v4, v8 :: v_dual_mov_b32 v8, v3
.LBB0_6:                                ;   in Loop: Header=BB0_2 Depth=1
	s_wait_alu 0xfffe
	s_or_b32 exec_lo, exec_lo, s2
	s_load_b64 s[22:23], s[14:15], 0x0
	s_delay_alu instid0(VALU_DEP_1)
	v_mul_lo_u32 v4, v8, s20
	v_mul_lo_u32 v11, v7, s21
	v_mad_co_u64_u32 v[9:10], null, v7, s20, 0
	s_add_nc_u64 s[16:17], s[16:17], 1
	s_add_nc_u64 s[14:15], s[14:15], 8
	s_wait_alu 0xfffe
	v_cmp_ge_u64_e64 s2, s[16:17], s[6:7]
	s_add_nc_u64 s[18:19], s[18:19], 8
	s_delay_alu instid0(VALU_DEP_2) | instskip(NEXT) | instid1(VALU_DEP_3)
	v_add3_u32 v4, v10, v11, v4
	v_sub_co_u32 v5, vcc_lo, v5, v9
	s_wait_alu 0xfffd
	s_delay_alu instid0(VALU_DEP_2) | instskip(SKIP_3) | instid1(VALU_DEP_2)
	v_sub_co_ci_u32_e32 v4, vcc_lo, v6, v4, vcc_lo
	s_and_b32 vcc_lo, exec_lo, s2
	s_wait_kmcnt 0x0
	v_mul_lo_u32 v6, s23, v5
	v_mul_lo_u32 v4, s22, v4
	v_mad_co_u64_u32 v[1:2], null, s22, v5, v[1:2]
	s_delay_alu instid0(VALU_DEP_1)
	v_add3_u32 v2, v6, v2, v4
	s_wait_alu 0xfffe
	s_cbranch_vccnz .LBB0_9
; %bb.7:                                ;   in Loop: Header=BB0_2 Depth=1
	v_dual_mov_b32 v5, v7 :: v_dual_mov_b32 v6, v8
	s_branch .LBB0_2
.LBB0_8:
	v_dual_mov_b32 v8, v6 :: v_dual_mov_b32 v7, v5
.LBB0_9:
	s_lshl_b64 s[2:3], s[6:7], 3
	v_mul_hi_u32 v3, 0x2492493, v0
	s_wait_alu 0xfffe
	s_add_nc_u64 s[2:3], s[12:13], s[2:3]
	s_load_b64 s[0:1], s[0:1], 0x20
	s_load_b64 s[2:3], s[2:3], 0x0
                                        ; implicit-def: $vgpr109
                                        ; implicit-def: $vgpr111
                                        ; implicit-def: $vgpr97
                                        ; implicit-def: $vgpr96
                                        ; implicit-def: $vgpr81
	s_delay_alu instid0(VALU_DEP_1) | instskip(NEXT) | instid1(VALU_DEP_1)
	v_mul_u32_u24_e32 v3, 0x70, v3
	v_sub_nc_u32_e32 v104, v0, v3
	s_delay_alu instid0(VALU_DEP_1)
	v_add_nc_u32_e32 v103, 0x70, v104
	v_add_nc_u32_e32 v102, 0xe0, v104
	;; [unrolled: 1-line block ×4, first 2 shown]
	s_wait_kmcnt 0x0
	v_cmp_gt_u64_e32 vcc_lo, s[0:1], v[7:8]
	v_mul_lo_u32 v3, s2, v8
	v_mul_lo_u32 v4, s3, v7
	v_mad_co_u64_u32 v[0:1], null, s2, v7, v[1:2]
	v_cmp_le_u64_e64 s0, s[0:1], v[7:8]
	v_add_nc_u32_e32 v80, 0x230, v104
	v_add_nc_u32_e32 v107, 0x2a0, v104
	s_delay_alu instid0(VALU_DEP_4) | instskip(NEXT) | instid1(VALU_DEP_4)
	v_add3_u32 v1, v4, v1, v3
	s_and_saveexec_b32 s1, s0
	s_wait_alu 0xfffe
	s_xor_b32 s0, exec_lo, s1
; %bb.10:
	v_add_nc_u32_e32 v109, 0x70, v104
	v_add_nc_u32_e32 v111, 0xe0, v104
	;; [unrolled: 1-line block ×6, first 2 shown]
; %bb.11:
	s_wait_alu 0xfffe
	s_or_saveexec_b32 s1, s0
	v_lshlrev_b64_e32 v[78:79], 4, v[0:1]
                                        ; implicit-def: $vgpr64_vgpr65
                                        ; implicit-def: $vgpr60_vgpr61
                                        ; implicit-def: $vgpr48_vgpr49
                                        ; implicit-def: $vgpr34_vgpr35
                                        ; implicit-def: $vgpr52_vgpr53
                                        ; implicit-def: $vgpr38_vgpr39
                                        ; implicit-def: $vgpr56_vgpr57
                                        ; implicit-def: $vgpr42_vgpr43
                                        ; implicit-def: $vgpr30_vgpr31
                                        ; implicit-def: $vgpr26_vgpr27
                                        ; implicit-def: $vgpr18_vgpr19
                                        ; implicit-def: $vgpr10_vgpr11
                                        ; implicit-def: $vgpr22_vgpr23
                                        ; implicit-def: $vgpr14_vgpr15
                                        ; implicit-def: $vgpr6_vgpr7
                                        ; implicit-def: $vgpr2_vgpr3
	s_wait_alu 0xfffe
	s_xor_b32 exec_lo, exec_lo, s1
	s_cbranch_execz .LBB0_15
; %bb.12:
	v_add_nc_u32_e32 v6, 0x348, v104
	v_mad_co_u64_u32 v[0:1], null, s8, v104, 0
	v_mad_co_u64_u32 v[8:9], null, s8, v103, 0
	s_delay_alu instid0(VALU_DEP_3) | instskip(SKIP_4) | instid1(VALU_DEP_4)
	v_mad_co_u64_u32 v[2:3], null, s8, v6, 0
	v_add_co_u32 v44, s0, s10, v78
	s_wait_alu 0xf1ff
	v_add_co_ci_u32_e64 v45, s0, s11, v79, s0
	v_mad_co_u64_u32 v[12:13], null, s8, v102, 0
	v_mad_co_u64_u32 v[4:5], null, s9, v104, v[1:2]
	v_add_nc_u32_e32 v19, 0x428, v104
	v_mad_co_u64_u32 v[24:25], null, s8, v106, 0
	v_mad_co_u64_u32 v[32:33], null, s8, v105, 0
	;; [unrolled: 1-line block ×3, first 2 shown]
	v_mov_b32_e32 v1, v4
	v_mad_co_u64_u32 v[5:6], null, s9, v6, v[3:4]
	v_add_nc_u32_e32 v14, 0x3b8, v104
	v_add_nc_u32_e32 v43, 0x578, v104
	s_delay_alu instid0(VALU_DEP_4)
	v_lshlrev_b64_e32 v[0:1], 4, v[0:1]
	v_mad_co_u64_u32 v[36:37], null, s8, v80, 0
	v_add_nc_u32_e32 v49, 0x5e8, v104
	v_mov_b32_e32 v3, v5
	v_mad_co_u64_u32 v[10:11], null, s8, v14, 0
	v_mov_b32_e32 v4, v9
	v_add_co_u32 v0, s0, v44, v0
	s_delay_alu instid0(VALU_DEP_4) | instskip(SKIP_4) | instid1(VALU_DEP_4)
	v_lshlrev_b64_e32 v[2:3], 4, v[2:3]
	s_wait_alu 0xf1ff
	v_add_co_ci_u32_e64 v1, s0, v45, v1, s0
	v_mad_co_u64_u32 v[4:5], null, s9, v103, v[4:5]
	v_mov_b32_e32 v5, v11
	v_add_co_u32 v6, s0, v44, v2
	v_dual_mov_b32 v11, v13 :: v_dual_add_nc_u32 v20, 0x498, v104
	s_wait_alu 0xf1ff
	v_add_co_ci_u32_e64 v7, s0, v45, v3, s0
	s_delay_alu instid0(VALU_DEP_3) | instskip(SKIP_4) | instid1(VALU_DEP_4)
	v_mad_co_u64_u32 v[14:15], null, s9, v14, v[5:6]
	v_mad_co_u64_u32 v[15:16], null, s8, v19, 0
	v_mov_b32_e32 v9, v4
	v_mad_co_u64_u32 v[17:18], null, s9, v102, v[11:12]
	v_mad_co_u64_u32 v[26:27], null, s8, v20, 0
	v_dual_mov_b32 v11, v14 :: v_dual_mov_b32 v14, v16
	s_delay_alu instid0(VALU_DEP_4) | instskip(NEXT) | instid1(VALU_DEP_4)
	v_lshlrev_b64_e32 v[8:9], 4, v[8:9]
	v_dual_mov_b32 v13, v17 :: v_dual_add_nc_u32 v38, 0x508, v104
	s_delay_alu instid0(VALU_DEP_3) | instskip(NEXT) | instid1(VALU_DEP_4)
	v_lshlrev_b64_e32 v[10:11], 4, v[10:11]
	v_mad_co_u64_u32 v[16:17], null, s9, v19, v[14:15]
	s_delay_alu instid0(VALU_DEP_4) | instskip(NEXT) | instid1(VALU_DEP_4)
	v_add_co_u32 v8, s0, v44, v8
	v_lshlrev_b64_e32 v[12:13], 4, v[12:13]
	v_mov_b32_e32 v14, v25
	s_wait_alu 0xf1ff
	v_add_co_ci_u32_e64 v9, s0, v45, v9, s0
	v_lshlrev_b64_e32 v[15:16], 4, v[15:16]
	v_add_co_u32 v10, s0, v44, v10
	s_wait_alu 0xf1ff
	v_add_co_ci_u32_e64 v11, s0, v45, v11, s0
	s_clause 0x1
	global_load_b128 v[0:3], v[0:1], off
	global_load_b128 v[4:7], v[6:7], off
	v_mad_co_u64_u32 v[17:18], null, s9, v106, v[14:15]
	v_add_co_u32 v18, s0, v44, v12
	v_mov_b32_e32 v12, v27
	s_wait_alu 0xf1ff
	v_add_co_ci_u32_e64 v19, s0, v45, v13, s0
	v_add_co_u32 v27, s0, v44, v15
	s_delay_alu instid0(VALU_DEP_3)
	v_mad_co_u64_u32 v[29:30], null, s9, v20, v[12:13]
	v_mov_b32_e32 v25, v17
	s_wait_alu 0xf1ff
	v_add_co_ci_u32_e64 v28, s0, v45, v16, s0
	s_clause 0x3
	global_load_b128 v[12:15], v[8:9], off
	global_load_b128 v[20:23], v[10:11], off
	;; [unrolled: 1-line block ×4, first 2 shown]
	v_mov_b32_e32 v28, v33
	v_lshlrev_b64_e32 v[24:25], 4, v[24:25]
	v_mov_b32_e32 v27, v29
	v_mad_co_u64_u32 v[34:35], null, s8, v38, 0
	s_delay_alu instid0(VALU_DEP_4) | instskip(NEXT) | instid1(VALU_DEP_3)
	v_mad_co_u64_u32 v[28:29], null, s9, v105, v[28:29]
	v_lshlrev_b64_e32 v[26:27], 4, v[26:27]
	v_add_co_u32 v24, s0, v44, v24
	s_wait_alu 0xf1ff
	v_add_co_ci_u32_e64 v25, s0, v45, v25, s0
	v_mov_b32_e32 v29, v35
	s_delay_alu instid0(VALU_DEP_4) | instskip(SKIP_3) | instid1(VALU_DEP_2)
	v_add_co_u32 v30, s0, v44, v26
	s_wait_alu 0xf1ff
	v_add_co_ci_u32_e64 v31, s0, v45, v27, s0
	s_mov_b32 s2, exec_lo
	v_mad_co_u64_u32 v[38:39], null, s9, v38, v[29:30]
	v_mad_co_u64_u32 v[39:40], null, s8, v43, 0
                                        ; implicit-def: $vgpr62_vgpr63
	s_delay_alu instid0(VALU_DEP_2) | instskip(SKIP_1) | instid1(VALU_DEP_3)
	v_mov_b32_e32 v35, v38
	v_mad_co_u64_u32 v[37:38], null, s9, v80, v[37:38]
	v_mov_b32_e32 v38, v40
	s_delay_alu instid0(VALU_DEP_3) | instskip(NEXT) | instid1(VALU_DEP_2)
	v_lshlrev_b64_e32 v[34:35], 4, v[34:35]
	v_mad_co_u64_u32 v[46:47], null, s9, v43, v[38:39]
	v_mov_b32_e32 v38, v42
	v_mad_co_u64_u32 v[47:48], null, s8, v49, 0
	v_mov_b32_e32 v33, v28
	v_lshlrev_b64_e32 v[36:37], 4, v[36:37]
	s_delay_alu instid0(VALU_DEP_4)
	v_mad_co_u64_u32 v[42:43], null, s9, v107, v[38:39]
	v_mov_b32_e32 v40, v46
	s_clause 0x1
	global_load_b128 v[24:27], v[24:25], off
	global_load_b128 v[28:31], v[30:31], off
	v_mov_b32_e32 v38, v48
	v_lshlrev_b64_e32 v[32:33], 4, v[32:33]
	s_delay_alu instid0(VALU_DEP_2) | instskip(NEXT) | instid1(VALU_DEP_2)
	v_mad_co_u64_u32 v[48:49], null, s9, v49, v[38:39]
	v_add_co_u32 v32, s0, v44, v32
	s_wait_alu 0xf1ff
	s_delay_alu instid0(VALU_DEP_3)
	v_add_co_ci_u32_e64 v33, s0, v45, v33, s0
	v_add_co_u32 v34, s0, v44, v34
	v_lshlrev_b64_e32 v[38:39], 4, v[39:40]
	s_wait_alu 0xf1ff
	v_add_co_ci_u32_e64 v35, s0, v45, v35, s0
	v_add_co_u32 v36, s0, v44, v36
	s_wait_alu 0xf1ff
	v_add_co_ci_u32_e64 v37, s0, v45, v37, s0
	v_lshlrev_b64_e32 v[40:41], 4, v[41:42]
	v_add_co_u32 v49, s0, v44, v38
	s_wait_alu 0xf1ff
	v_add_co_ci_u32_e64 v50, s0, v45, v39, s0
	v_lshlrev_b64_e32 v[38:39], 4, v[47:48]
	s_delay_alu instid0(VALU_DEP_4) | instskip(SKIP_2) | instid1(VALU_DEP_3)
	v_add_co_u32 v46, s0, v44, v40
	s_wait_alu 0xf1ff
	v_add_co_ci_u32_e64 v47, s0, v45, v41, s0
	v_add_co_u32 v58, s0, v44, v38
	s_wait_alu 0xf1ff
	v_add_co_ci_u32_e64 v59, s0, v45, v39, s0
	s_clause 0x5
	global_load_b128 v[40:43], v[32:33], off
	global_load_b128 v[54:57], v[34:35], off
	;; [unrolled: 1-line block ×6, first 2 shown]
                                        ; implicit-def: $vgpr58_vgpr59
	v_cmpx_gt_u32_e32 56, v104
	s_cbranch_execz .LBB0_14
; %bb.13:
	v_add_nc_u32_e32 v62, 0x310, v104
	v_add_nc_u32_e32 v64, 0x658, v104
	s_delay_alu instid0(VALU_DEP_2) | instskip(NEXT) | instid1(VALU_DEP_2)
	v_mad_co_u64_u32 v[58:59], null, s8, v62, 0
	v_mad_co_u64_u32 v[60:61], null, s8, v64, 0
	s_delay_alu instid0(VALU_DEP_1) | instskip(NEXT) | instid1(VALU_DEP_1)
	v_mad_co_u64_u32 v[62:63], null, s9, v62, v[59:60]
	v_mov_b32_e32 v59, v62
	s_delay_alu instid0(VALU_DEP_3) | instskip(NEXT) | instid1(VALU_DEP_2)
	v_mad_co_u64_u32 v[63:64], null, s9, v64, v[61:62]
	v_lshlrev_b64_e32 v[58:59], 4, v[58:59]
	s_delay_alu instid0(VALU_DEP_2) | instskip(NEXT) | instid1(VALU_DEP_2)
	v_mov_b32_e32 v61, v63
	v_add_co_u32 v58, s0, v44, v58
	s_wait_alu 0xf1ff
	s_delay_alu instid0(VALU_DEP_3) | instskip(NEXT) | instid1(VALU_DEP_3)
	v_add_co_ci_u32_e64 v59, s0, v45, v59, s0
	v_lshlrev_b64_e32 v[60:61], 4, v[60:61]
	s_delay_alu instid0(VALU_DEP_1) | instskip(SKIP_1) | instid1(VALU_DEP_2)
	v_add_co_u32 v44, s0, v44, v60
	s_wait_alu 0xf1ff
	v_add_co_ci_u32_e64 v45, s0, v45, v61, s0
	s_clause 0x1
	global_load_b128 v[58:61], v[58:59], off
	global_load_b128 v[62:65], v[44:45], off
.LBB0_14:
	s_wait_alu 0xfffe
	s_or_b32 exec_lo, exec_lo, s2
	v_dual_mov_b32 v81, v107 :: v_dual_mov_b32 v96, v105
	v_mov_b32_e32 v97, v106
	v_mov_b32_e32 v111, v102
	;; [unrolled: 1-line block ×3, first 2 shown]
.LBB0_15:
	s_or_b32 exec_lo, exec_lo, s1
	s_wait_loadcnt 0xc
	v_add_f64_e64 v[68:69], v[0:1], -v[4:5]
	s_wait_loadcnt 0x0
	v_add_f64_e64 v[100:101], v[32:33], -v[46:47]
	v_add_f64_e64 v[46:47], v[58:59], -v[62:63]
	;; [unrolled: 1-line block ×7, first 2 shown]
	v_add_nc_u32_e32 v108, 0x310, v104
	v_lshl_add_u32 v20, v111, 4, 0
	v_lshl_add_u32 v29, v80, 4, 0
	;; [unrolled: 1-line block ×3, first 2 shown]
	v_cmp_gt_u32_e64 s0, 56, v104
	v_lshl_add_u32 v21, v108, 4, 0
	v_fma_f64 v[66:67], v[0:1], 2.0, -v[68:69]
	v_fma_f64 v[98:99], v[32:33], 2.0, -v[100:101]
	v_fma_f64 v[44:45], v[58:59], 2.0, -v[46:47]
	v_fma_f64 v[70:71], v[12:13], 2.0, -v[72:73]
	v_fma_f64 v[74:75], v[8:9], 2.0, -v[76:77]
	v_fma_f64 v[82:83], v[24:25], 2.0, -v[84:85]
	v_fma_f64 v[86:87], v[40:41], 2.0, -v[88:89]
	v_fma_f64 v[90:91], v[36:37], 2.0, -v[92:93]
	v_lshl_add_u32 v24, v104, 4, 0
	v_lshl_add_u32 v1, v109, 4, 0
	;; [unrolled: 1-line block ×4, first 2 shown]
	ds_store_b128 v24, v[66:69]
	ds_store_b128 v1, v[70:73]
	;; [unrolled: 1-line block ×7, first 2 shown]
	s_and_saveexec_b32 s1, s0
	s_cbranch_execz .LBB0_17
; %bb.16:
	ds_store_b128 v21, v[44:47]
.LBB0_17:
	s_wait_alu 0xfffe
	s_or_b32 exec_lo, exec_lo, s1
	v_lshlrev_b32_e32 v4, 3, v104
	v_lshlrev_b32_e32 v25, 3, v111
	;; [unrolled: 1-line block ×5, first 2 shown]
	v_sub_nc_u32_e32 v110, v24, v4
	v_sub_nc_u32_e32 v4, v20, v25
	v_lshlrev_b32_e32 v33, 3, v109
	v_lshlrev_b32_e32 v83, 3, v81
	global_wb scope:SCOPE_SE
	s_wait_dscnt 0x0
	v_add_nc_u32_e32 v5, 0x1800, v110
	v_add_nc_u32_e32 v16, 0x2000, v110
	s_barrier_signal -1
	s_barrier_wait -1
	global_inv scope:SCOPE_SE
	ds_load_b64 v[12:13], v110
	ds_load_b64 v[8:9], v4
	ds_load_2addr_b64 v[70:73], v5 offset0:72 offset1:184
	ds_load_2addr_b64 v[66:69], v16 offset0:40 offset1:152
	v_add_nc_u32_e32 v4, 0x2800, v110
	v_sub_nc_u32_e32 v5, v0, v62
	v_sub_nc_u32_e32 v37, v32, v63
	;; [unrolled: 1-line block ×5, first 2 shown]
	ds_load_2addr_b64 v[74:77], v4 offset0:8 offset1:120
	ds_load_b64 v[16:17], v5
	ds_load_b64 v[40:41], v37
	;; [unrolled: 1-line block ×5, first 2 shown]
	ds_load_b64 v[36:37], v110 offset:12096
	s_and_saveexec_b32 s1, s0
	s_cbranch_execz .LBB0_19
; %bb.18:
	ds_load_b64 v[44:45], v110 offset:6272
	ds_load_b64 v[46:47], v110 offset:12992
.LBB0_19:
	s_wait_alu 0xfffe
	s_or_b32 exec_lo, exec_lo, s1
	v_add_f64_e64 v[86:87], v[2:3], -v[6:7]
	v_add_f64_e64 v[4:5], v[60:61], -v[64:65]
	;; [unrolled: 1-line block ×8, first 2 shown]
	v_sub_nc_u32_e32 v7, 0, v82
	v_sub_nc_u32_e32 v6, 0, v83
	global_wb scope:SCOPE_SE
	s_wait_dscnt 0x0
	s_barrier_signal -1
	s_barrier_wait -1
	global_inv scope:SCOPE_SE
	v_fma_f64 v[84:85], v[2:3], 2.0, -v[86:87]
	v_fma_f64 v[2:3], v[60:61], 2.0, -v[4:5]
	;; [unrolled: 1-line block ×8, first 2 shown]
	v_sub_nc_u32_e32 v14, 0, v33
	v_sub_nc_u32_e32 v15, 0, v25
	v_sub_nc_u32_e32 v10, 0, v62
	v_sub_nc_u32_e32 v11, 0, v63
	ds_store_b128 v24, v[84:87]
	ds_store_b128 v1, v[88:91]
	;; [unrolled: 1-line block ×7, first 2 shown]
	s_and_saveexec_b32 s1, s0
	s_cbranch_execz .LBB0_21
; %bb.20:
	ds_store_b128 v21, v[2:5]
.LBB0_21:
	s_wait_alu 0xfffe
	s_or_b32 exec_lo, exec_lo, s1
	v_add_nc_u32_e32 v112, v20, v15
	v_add_nc_u32_e32 v113, v1, v14
	;; [unrolled: 1-line block ×9, first 2 shown]
	global_wb scope:SCOPE_SE
	s_wait_dscnt 0x0
	s_barrier_signal -1
	s_barrier_wait -1
	global_inv scope:SCOPE_SE
	ds_load_b64 v[34:35], v110
	ds_load_2addr_b64 v[18:21], v18 offset0:72 offset1:184
	ds_load_b64 v[38:39], v112
	ds_load_2addr_b64 v[22:25], v15 offset0:40 offset1:152
	ds_load_2addr_b64 v[26:29], v1 offset0:8 offset1:120
	ds_load_b64 v[42:43], v114
	ds_load_b64 v[56:57], v92
	;; [unrolled: 1-line block ×5, first 2 shown]
	ds_load_b64 v[52:53], v110 offset:12096
	v_lshlrev_b32_e32 v118, 1, v104
	v_lshlrev_b32_e32 v117, 1, v109
	;; [unrolled: 1-line block ×7, first 2 shown]
	s_and_saveexec_b32 s1, s0
	s_cbranch_execz .LBB0_23
; %bb.22:
	ds_load_b64 v[2:3], v110 offset:6272
	ds_load_b64 v[4:5], v110 offset:12992
.LBB0_23:
	s_wait_alu 0xfffe
	s_or_b32 exec_lo, exec_lo, s1
	v_and_b32_e32 v119, 1, v104
	v_lshlrev_b32_e32 v94, 1, v108
	s_delay_alu instid0(VALU_DEP_2)
	v_lshlrev_b32_e32 v0, 4, v119
	v_and_or_b32 v98, 0x7fc, v95, v119
	global_load_b128 v[30:33], v0, s[4:5]
	v_lshl_add_u32 v120, v98, 3, 0
	global_wb scope:SCOPE_SE
	s_wait_loadcnt_dscnt 0x0
	s_barrier_signal -1
	s_barrier_wait -1
	global_inv scope:SCOPE_SE
	v_mul_f64_e32 v[0:1], v[18:19], v[32:33]
	v_mul_f64_e32 v[84:85], v[4:5], v[32:33]
	;; [unrolled: 1-line block ×8, first 2 shown]
	v_fma_f64 v[0:1], v[70:71], v[30:31], -v[0:1]
	v_fma_f64 v[84:85], v[46:47], v[30:31], -v[84:85]
	v_fma_f64 v[6:7], v[72:73], v[30:31], -v[6:7]
	v_fma_f64 v[10:11], v[66:67], v[30:31], -v[10:11]
	v_fma_f64 v[14:15], v[68:69], v[30:31], -v[14:15]
	v_fma_f64 v[48:49], v[74:75], v[30:31], -v[48:49]
	v_fma_f64 v[80:81], v[76:77], v[30:31], -v[80:81]
	v_fma_f64 v[82:83], v[36:37], v[30:31], -v[82:83]
	v_add_f64_e64 v[86:87], v[12:13], -v[0:1]
	v_add_f64_e64 v[0:1], v[44:45], -v[84:85]
	;; [unrolled: 1-line block ×8, first 2 shown]
	v_fma_f64 v[12:13], v[12:13], 2.0, -v[86:87]
	v_fma_f64 v[44:45], v[44:45], 2.0, -v[0:1]
	;; [unrolled: 1-line block ×8, first 2 shown]
	v_and_or_b32 v40, 0xfc, v118, v119
	v_and_or_b32 v41, 0x1fc, v117, v119
	;; [unrolled: 1-line block ×6, first 2 shown]
	v_lshl_add_u32 v40, v40, 3, 0
	v_lshl_add_u32 v41, v41, 3, 0
	v_lshl_add_u32 v54, v54, 3, 0
	v_lshl_add_u32 v55, v55, 3, 0
	v_lshl_add_u32 v58, v58, 3, 0
	v_lshl_add_u32 v59, v59, 3, 0
	ds_store_2addr_b64 v40, v[12:13], v[86:87] offset1:2
	ds_store_2addr_b64 v41, v[84:85], v[6:7] offset1:2
	;; [unrolled: 1-line block ×7, first 2 shown]
	s_and_saveexec_b32 s1, s0
	s_cbranch_execz .LBB0_25
; %bb.24:
	v_and_or_b32 v6, 0x6fc, v94, v119
	s_delay_alu instid0(VALU_DEP_1)
	v_lshl_add_u32 v6, v6, 3, 0
	ds_store_2addr_b64 v6, v[44:45], v[0:1] offset1:2
.LBB0_25:
	s_wait_alu 0xfffe
	s_or_b32 exec_lo, exec_lo, s1
	v_add_nc_u32_e32 v6, 0x1800, v110
	v_add_nc_u32_e32 v7, 0x2000, v110
	;; [unrolled: 1-line block ×3, first 2 shown]
	global_wb scope:SCOPE_SE
	s_wait_dscnt 0x0
	s_barrier_signal -1
	s_barrier_wait -1
	global_inv scope:SCOPE_SE
	ds_load_b64 v[50:51], v110
	ds_load_2addr_b64 v[14:17], v6 offset0:72 offset1:184
	ds_load_b64 v[80:81], v112
	ds_load_2addr_b64 v[10:13], v7 offset0:40 offset1:152
	ds_load_2addr_b64 v[6:9], v8 offset0:8 offset1:120
	ds_load_b64 v[82:83], v114
	ds_load_b64 v[84:85], v92
	ds_load_b64 v[86:87], v93
	ds_load_b64 v[88:89], v115
	ds_load_b64 v[90:91], v113
	ds_load_b64 v[48:49], v110 offset:12096
	v_lshl_add_u32 v98, v104, 3, 0
	s_and_saveexec_b32 s1, s0
	s_cbranch_execz .LBB0_27
; %bb.26:
	ds_load_b64 v[44:45], v98 offset:6272
	ds_load_b64 v[0:1], v110 offset:12992
.LBB0_27:
	s_wait_alu 0xfffe
	s_or_b32 exec_lo, exec_lo, s1
	v_mul_f64_e32 v[70:71], v[70:71], v[32:33]
	v_mul_f64_e32 v[72:73], v[72:73], v[32:33]
	;; [unrolled: 1-line block ×8, first 2 shown]
	global_wb scope:SCOPE_SE
	s_wait_dscnt 0x0
	s_barrier_signal -1
	s_barrier_wait -1
	global_inv scope:SCOPE_SE
	v_fma_f64 v[18:19], v[18:19], v[30:31], v[70:71]
	v_fma_f64 v[20:21], v[20:21], v[30:31], v[72:73]
	;; [unrolled: 1-line block ×8, first 2 shown]
	v_add_f64_e64 v[18:19], v[34:35], -v[18:19]
	v_add_f64_e64 v[20:21], v[64:65], -v[20:21]
	;; [unrolled: 1-line block ×8, first 2 shown]
	v_fma_f64 v[4:5], v[34:35], 2.0, -v[18:19]
	v_fma_f64 v[32:33], v[64:65], 2.0, -v[20:21]
	;; [unrolled: 1-line block ×8, first 2 shown]
	ds_store_2addr_b64 v40, v[4:5], v[18:19] offset1:2
	ds_store_2addr_b64 v41, v[32:33], v[20:21] offset1:2
	;; [unrolled: 1-line block ×7, first 2 shown]
	s_and_saveexec_b32 s1, s0
	s_cbranch_execz .LBB0_29
; %bb.28:
	v_and_or_b32 v2, 0x6fc, v94, v119
	s_delay_alu instid0(VALU_DEP_1)
	v_lshl_add_u32 v2, v2, 3, 0
	ds_store_2addr_b64 v2, v[46:47], v[52:53] offset1:2
.LBB0_29:
	s_wait_alu 0xfffe
	s_or_b32 exec_lo, exec_lo, s1
	v_add_nc_u32_e32 v2, 0x1800, v110
	v_add_nc_u32_e32 v3, 0x2000, v110
	;; [unrolled: 1-line block ×3, first 2 shown]
	global_wb scope:SCOPE_SE
	s_wait_dscnt 0x0
	s_barrier_signal -1
	s_barrier_wait -1
	global_inv scope:SCOPE_SE
	ds_load_b64 v[54:55], v110
	ds_load_2addr_b64 v[30:33], v2 offset0:72 offset1:184
	ds_load_b64 v[56:57], v112
	ds_load_2addr_b64 v[34:37], v3 offset0:40 offset1:152
	ds_load_2addr_b64 v[26:29], v4 offset0:8 offset1:120
	ds_load_b64 v[58:59], v114
	ds_load_b64 v[60:61], v92
	;; [unrolled: 1-line block ×5, first 2 shown]
	ds_load_b64 v[68:69], v110 offset:12096
	s_and_saveexec_b32 s1, s0
	s_cbranch_execz .LBB0_31
; %bb.30:
	ds_load_b64 v[46:47], v98 offset:6272
	ds_load_b64 v[52:53], v110 offset:12992
.LBB0_31:
	s_wait_alu 0xfffe
	s_or_b32 exec_lo, exec_lo, s1
	v_and_b32_e32 v119, 3, v104
	s_delay_alu instid0(VALU_DEP_1)
	v_lshlrev_b32_e32 v2, 4, v119
	v_and_or_b32 v120, 0x7f8, v95, v119
	global_load_b128 v[38:41], v2, s[4:5] offset:32
	v_lshl_add_u32 v120, v120, 3, 0
	global_wb scope:SCOPE_SE
	s_wait_loadcnt_dscnt 0x0
	s_barrier_signal -1
	s_barrier_wait -1
	global_inv scope:SCOPE_SE
	v_mul_f64_e32 v[2:3], v[30:31], v[40:41]
	v_mul_f64_e32 v[42:43], v[68:69], v[40:41]
	;; [unrolled: 1-line block ×8, first 2 shown]
	v_fma_f64 v[2:3], v[14:15], v[38:39], -v[2:3]
	v_fma_f64 v[42:43], v[48:49], v[38:39], -v[42:43]
	;; [unrolled: 1-line block ×8, first 2 shown]
	v_add_f64_e64 v[2:3], v[50:51], -v[2:3]
	v_add_f64_e64 v[72:73], v[88:89], -v[42:43]
	;; [unrolled: 1-line block ×8, first 2 shown]
	v_fma_f64 v[50:51], v[50:51], 2.0, -v[2:3]
	v_fma_f64 v[44:45], v[44:45], 2.0, -v[42:43]
	v_fma_f64 v[70:71], v[90:91], 2.0, -v[4:5]
	v_fma_f64 v[74:75], v[80:81], 2.0, -v[18:19]
	v_fma_f64 v[76:77], v[82:83], 2.0, -v[20:21]
	v_fma_f64 v[80:81], v[84:85], 2.0, -v[22:23]
	v_fma_f64 v[82:83], v[86:87], 2.0, -v[24:25]
	v_fma_f64 v[84:85], v[88:89], 2.0, -v[72:73]
	v_and_or_b32 v86, 0xf8, v118, v119
	v_and_or_b32 v87, 0x1f8, v117, v119
	;; [unrolled: 1-line block ×6, first 2 shown]
	v_lshl_add_u32 v86, v86, 3, 0
	v_lshl_add_u32 v87, v87, 3, 0
	;; [unrolled: 1-line block ×6, first 2 shown]
	ds_store_2addr_b64 v86, v[50:51], v[2:3] offset1:4
	ds_store_2addr_b64 v87, v[70:71], v[4:5] offset1:4
	;; [unrolled: 1-line block ×7, first 2 shown]
	s_and_saveexec_b32 s1, s0
	s_cbranch_execz .LBB0_33
; %bb.32:
	v_and_or_b32 v2, 0x6f8, v94, v119
	s_delay_alu instid0(VALU_DEP_1)
	v_lshl_add_u32 v2, v2, 3, 0
	ds_store_2addr_b64 v2, v[44:45], v[42:43] offset1:4
.LBB0_33:
	s_wait_alu 0xfffe
	s_or_b32 exec_lo, exec_lo, s1
	v_add_nc_u32_e32 v2, 0x1800, v110
	v_add_nc_u32_e32 v3, 0x2000, v110
	;; [unrolled: 1-line block ×3, first 2 shown]
	global_wb scope:SCOPE_SE
	s_wait_dscnt 0x0
	s_barrier_signal -1
	s_barrier_wait -1
	global_inv scope:SCOPE_SE
	ds_load_b64 v[70:71], v110
	ds_load_2addr_b64 v[22:25], v2 offset0:72 offset1:184
	ds_load_b64 v[72:73], v112
	ds_load_2addr_b64 v[18:21], v3 offset0:40 offset1:152
	ds_load_2addr_b64 v[2:5], v4 offset0:8 offset1:120
	ds_load_b64 v[74:75], v114
	ds_load_b64 v[76:77], v92
	ds_load_b64 v[80:81], v93
	ds_load_b64 v[82:83], v115
	ds_load_b64 v[84:85], v113
	ds_load_b64 v[50:51], v110 offset:12096
	s_and_saveexec_b32 s1, s0
	s_cbranch_execz .LBB0_35
; %bb.34:
	ds_load_b64 v[44:45], v98 offset:6272
	ds_load_b64 v[42:43], v110 offset:12992
.LBB0_35:
	s_wait_alu 0xfffe
	s_or_b32 exec_lo, exec_lo, s1
	v_mul_f64_e32 v[14:15], v[14:15], v[40:41]
	v_mul_f64_e32 v[0:1], v[0:1], v[40:41]
	;; [unrolled: 1-line block ×8, first 2 shown]
	global_wb scope:SCOPE_SE
	s_wait_dscnt 0x0
	s_barrier_signal -1
	s_barrier_wait -1
	global_inv scope:SCOPE_SE
	v_fma_f64 v[14:15], v[30:31], v[38:39], v[14:15]
	v_fma_f64 v[0:1], v[52:53], v[38:39], v[0:1]
	;; [unrolled: 1-line block ×8, first 2 shown]
	v_add_f64_e64 v[14:15], v[54:55], -v[14:15]
	v_add_f64_e64 v[32:33], v[46:47], -v[0:1]
	;; [unrolled: 1-line block ×8, first 2 shown]
	v_fma_f64 v[0:1], v[54:55], 2.0, -v[14:15]
	v_fma_f64 v[30:31], v[46:47], 2.0, -v[32:33]
	;; [unrolled: 1-line block ×8, first 2 shown]
	ds_store_2addr_b64 v86, v[0:1], v[14:15] offset1:4
	ds_store_2addr_b64 v87, v[28:29], v[16:17] offset1:4
	;; [unrolled: 1-line block ×7, first 2 shown]
	s_and_saveexec_b32 s1, s0
	s_cbranch_execz .LBB0_37
; %bb.36:
	v_and_or_b32 v0, 0x6f8, v94, v119
	s_delay_alu instid0(VALU_DEP_1)
	v_lshl_add_u32 v0, v0, 3, 0
	ds_store_2addr_b64 v0, v[30:31], v[32:33] offset1:4
.LBB0_37:
	s_wait_alu 0xfffe
	s_or_b32 exec_lo, exec_lo, s1
	v_add_nc_u32_e32 v0, 0x1800, v110
	v_add_nc_u32_e32 v1, 0x2000, v110
	;; [unrolled: 1-line block ×3, first 2 shown]
	global_wb scope:SCOPE_SE
	s_wait_dscnt 0x0
	s_barrier_signal -1
	s_barrier_wait -1
	global_inv scope:SCOPE_SE
	ds_load_b64 v[34:35], v110
	ds_load_2addr_b64 v[10:13], v0 offset0:72 offset1:184
	ds_load_b64 v[36:37], v112
	ds_load_2addr_b64 v[14:17], v1 offset0:40 offset1:152
	ds_load_2addr_b64 v[6:9], v6 offset0:8 offset1:120
	ds_load_b64 v[38:39], v114
	ds_load_b64 v[40:41], v92
	ds_load_b64 v[46:47], v93
	ds_load_b64 v[48:49], v115
	ds_load_b64 v[52:53], v113
	ds_load_b64 v[54:55], v110 offset:12096
	s_and_saveexec_b32 s1, s0
	s_cbranch_execz .LBB0_39
; %bb.38:
	ds_load_b64 v[30:31], v98 offset:6272
	ds_load_b64 v[32:33], v110 offset:12992
.LBB0_39:
	s_wait_alu 0xfffe
	s_or_b32 exec_lo, exec_lo, s1
	v_and_b32_e32 v56, 7, v104
	s_delay_alu instid0(VALU_DEP_1)
	v_lshlrev_b32_e32 v0, 4, v56
	global_load_b128 v[26:29], v0, s[4:5] offset:96
	global_wb scope:SCOPE_SE
	s_wait_loadcnt_dscnt 0x0
	s_barrier_signal -1
	s_barrier_wait -1
	global_inv scope:SCOPE_SE
	v_mul_f64_e32 v[0:1], v[10:11], v[28:29]
	v_mul_f64_e32 v[57:58], v[12:13], v[28:29]
	;; [unrolled: 1-line block ×8, first 2 shown]
	v_fma_f64 v[0:1], v[22:23], v[26:27], -v[0:1]
	v_fma_f64 v[57:58], v[24:25], v[26:27], -v[57:58]
	;; [unrolled: 1-line block ×7, first 2 shown]
	v_add_f64_e64 v[88:89], v[70:71], -v[0:1]
	v_fma_f64 v[0:1], v[42:43], v[26:27], -v[86:87]
	v_add_f64_e64 v[90:91], v[84:85], -v[57:58]
	v_add_f64_e64 v[119:120], v[72:73], -v[59:60]
	;; [unrolled: 1-line block ×6, first 2 shown]
	v_and_or_b32 v57, 0xf0, v118, v56
	v_and_or_b32 v58, 0x1f0, v117, v56
	;; [unrolled: 1-line block ×7, first 2 shown]
	v_lshl_add_u32 v57, v57, 3, 0
	v_lshl_add_u32 v58, v58, 3, 0
	;; [unrolled: 1-line block ×7, first 2 shown]
	v_fma_f64 v[68:69], v[70:71], 2.0, -v[88:89]
	v_add_f64_e64 v[0:1], v[44:45], -v[0:1]
	v_fma_f64 v[70:71], v[84:85], 2.0, -v[90:91]
	v_fma_f64 v[72:73], v[72:73], 2.0, -v[119:120]
	;; [unrolled: 1-line block ×6, first 2 shown]
	ds_store_2addr_b64 v57, v[68:69], v[88:89] offset1:8
	ds_store_2addr_b64 v58, v[70:71], v[90:91] offset1:8
	;; [unrolled: 1-line block ×7, first 2 shown]
	s_and_saveexec_b32 s1, s0
	s_cbranch_execz .LBB0_41
; %bb.40:
	v_fma_f64 v[44:45], v[44:45], 2.0, -v[0:1]
	v_and_or_b32 v64, 0x6f0, v94, v56
	s_delay_alu instid0(VALU_DEP_1)
	v_lshl_add_u32 v64, v64, 3, 0
	ds_store_2addr_b64 v64, v[44:45], v[0:1] offset1:8
.LBB0_41:
	s_wait_alu 0xfffe
	s_or_b32 exec_lo, exec_lo, s1
	v_mul_f64_e32 v[22:23], v[22:23], v[28:29]
	v_mul_f64_e32 v[2:3], v[2:3], v[28:29]
	;; [unrolled: 1-line block ×7, first 2 shown]
	global_wb scope:SCOPE_SE
	s_wait_dscnt 0x0
	s_barrier_signal -1
	s_barrier_wait -1
	global_inv scope:SCOPE_SE
	v_fma_f64 v[10:11], v[10:11], v[26:27], v[22:23]
	v_fma_f64 v[2:3], v[6:7], v[26:27], v[2:3]
	;; [unrolled: 1-line block ×3, first 2 shown]
	v_mul_f64_e32 v[8:9], v[42:43], v[28:29]
	v_fma_f64 v[12:13], v[12:13], v[26:27], v[24:25]
	v_fma_f64 v[14:15], v[14:15], v[26:27], v[18:19]
	;; [unrolled: 1-line block ×4, first 2 shown]
	v_add_nc_u32_e32 v24, 0x2000, v110
	v_add_nc_u32_e32 v25, 0x1400, v110
	ds_load_b64 v[22:23], v112
	v_add_f64_e64 v[42:43], v[34:35], -v[10:11]
	v_add_f64_e64 v[64:65], v[40:41], -v[2:3]
	;; [unrolled: 1-line block ×3, first 2 shown]
	v_fma_f64 v[2:3], v[32:33], v[26:27], v[8:9]
	ds_load_b64 v[32:33], v114
	v_add_f64_e64 v[44:45], v[52:53], -v[12:13]
	v_add_f64_e64 v[50:51], v[36:37], -v[14:15]
	;; [unrolled: 1-line block ×4, first 2 shown]
	v_add_nc_u32_e32 v26, 0x2800, v110
	v_add_nc_u32_e32 v27, 0x1800, v110
	v_fma_f64 v[70:71], v[34:35], 2.0, -v[42:43]
	v_fma_f64 v[40:41], v[40:41], 2.0, -v[64:65]
	;; [unrolled: 1-line block ×3, first 2 shown]
	v_add_f64_e64 v[4:5], v[30:31], -v[2:3]
	ds_load_b64 v[2:3], v110
	v_fma_f64 v[52:53], v[52:53], 2.0, -v[44:45]
	v_fma_f64 v[72:73], v[36:37], 2.0, -v[50:51]
	;; [unrolled: 1-line block ×4, first 2 shown]
	ds_load_b64 v[28:29], v93
	ds_load_b64 v[34:35], v92
	;; [unrolled: 1-line block ×3, first 2 shown]
	ds_load_b64 v[38:39], v110 offset:12544
	ds_load_2addr_b64 v[18:21], v24 offset0:96 offset1:208
	ds_load_2addr_b64 v[14:17], v25 offset0:32 offset1:144
	;; [unrolled: 1-line block ×4, first 2 shown]
	global_wb scope:SCOPE_SE
	s_wait_dscnt 0x0
	s_barrier_signal -1
	s_barrier_wait -1
	global_inv scope:SCOPE_SE
	ds_store_2addr_b64 v57, v[70:71], v[42:43] offset1:8
	ds_store_2addr_b64 v58, v[52:53], v[44:45] offset1:8
	;; [unrolled: 1-line block ×7, first 2 shown]
	s_and_saveexec_b32 s1, s0
	s_cbranch_execz .LBB0_43
; %bb.42:
	v_fma_f64 v[30:31], v[30:31], 2.0, -v[4:5]
	v_and_or_b32 v40, 0x6f0, v94, v56
	s_delay_alu instid0(VALU_DEP_1)
	v_lshl_add_u32 v40, v40, 3, 0
	ds_store_2addr_b64 v40, v[30:31], v[4:5] offset1:8
.LBB0_43:
	s_wait_alu 0xfffe
	s_or_b32 exec_lo, exec_lo, s1
	v_and_b32_e32 v101, 15, v104
	global_wb scope:SCOPE_SE
	s_wait_dscnt 0x0
	s_barrier_signal -1
	s_barrier_wait -1
	global_inv scope:SCOPE_SE
	v_lshlrev_b32_e32 v30, 5, v101
	s_mov_b32 s2, 0xe8584caa
	s_mov_b32 s3, 0x3febb67a
	;; [unrolled: 1-line block ×3, first 2 shown]
	s_wait_alu 0xfffe
	s_mov_b32 s6, s2
	s_clause 0x1
	global_load_b128 v[44:47], v30, s[4:5] offset:224
	global_load_b128 v[48:51], v30, s[4:5] offset:240
	ds_load_b64 v[56:57], v93
	ds_load_2addr_b64 v[52:55], v24 offset0:96 offset1:208
	ds_load_2addr_b64 v[70:73], v25 offset0:32 offset1:144
	;; [unrolled: 1-line block ×4, first 2 shown]
	ds_load_b64 v[26:27], v112
	ds_load_b64 v[76:77], v110 offset:12544
	ds_load_b64 v[24:25], v92
	v_cmp_gt_u32_e64 s0, 16, v104
	s_wait_loadcnt_dscnt 0x107
	v_mul_f64_e32 v[30:31], v[56:57], v[46:47]
	s_wait_loadcnt_dscnt 0x6
	v_mul_f64_e32 v[40:41], v[52:53], v[50:51]
	s_wait_dscnt 0x5
	v_mul_f64_e32 v[42:43], v[70:71], v[46:47]
	v_mul_f64_e32 v[58:59], v[54:55], v[50:51]
	;; [unrolled: 1-line block ×3, first 2 shown]
	s_wait_dscnt 0x4
	v_mul_f64_e32 v[62:63], v[80:81], v[50:51]
	s_wait_dscnt 0x3
	v_mul_f64_e32 v[68:69], v[84:85], v[46:47]
	v_mul_f64_e32 v[74:75], v[82:83], v[50:51]
	;; [unrolled: 1-line block ×3, first 2 shown]
	s_wait_dscnt 0x1
	v_mul_f64_e32 v[90:91], v[76:77], v[50:51]
	v_mul_f64_e32 v[92:93], v[28:29], v[46:47]
	;; [unrolled: 1-line block ×11, first 2 shown]
	v_fma_f64 v[64:65], v[28:29], v[44:45], -v[30:31]
	v_fma_f64 v[66:67], v[18:19], v[48:49], -v[40:41]
	;; [unrolled: 1-line block ×10, first 2 shown]
	v_fma_f64 v[68:69], v[56:57], v[44:45], v[92:93]
	v_fma_f64 v[8:9], v[52:53], v[48:49], v[94:95]
	;; [unrolled: 1-line block ×10, first 2 shown]
	v_lshrrev_b32_e32 v54, 4, v96
	v_add_nc_u32_e32 v96, 0x100, v110
	v_add_nc_u32_e32 v99, 0x180, v110
	ds_load_b64 v[90:91], v113
	ds_load_b64 v[92:93], v110
	;; [unrolled: 1-line block ×3, first 2 shown]
	v_mul_lo_u32 v54, v54, 48
	global_wb scope:SCOPE_SE
	s_wait_dscnt 0x0
	s_barrier_signal -1
	s_barrier_wait -1
	global_inv scope:SCOPE_SE
	v_or_b32_e32 v54, v54, v101
	s_delay_alu instid0(VALU_DEP_1)
	v_lshl_add_u32 v100, v54, 3, 0
	v_add_f64_e32 v[12:13], v[64:65], v[66:67]
	v_add_f64_e32 v[38:39], v[2:3], v[64:65]
	;; [unrolled: 1-line block ×10, first 2 shown]
	v_add_f64_e64 v[44:45], v[68:69], -v[8:9]
	v_fma_f64 v[2:3], v[12:13], -0.5, v[2:3]
	v_add_f64_e64 v[12:13], v[70:71], -v[56:57]
	v_fma_f64 v[14:15], v[14:15], -0.5, v[36:37]
	;; [unrolled: 2-line block ×5, first 2 shown]
	v_add_f64_e32 v[34:35], v[38:39], v[66:67]
	v_add_f64_e32 v[38:39], v[46:47], v[42:43]
	;; [unrolled: 1-line block ×5, first 2 shown]
	v_fma_f64 v[52:53], v[44:45], s[2:3], v[2:3]
	s_wait_alu 0xfffe
	v_fma_f64 v[2:3], v[44:45], s[6:7], v[2:3]
	v_fma_f64 v[44:45], v[12:13], s[2:3], v[14:15]
	;; [unrolled: 1-line block ×9, first 2 shown]
	v_lshrrev_b32_e32 v21, 4, v109
	v_lshrrev_b32_e32 v20, 4, v104
	;; [unrolled: 1-line block ×4, first 2 shown]
	v_add_nc_u32_e32 v97, 0x80, v110
	v_mul_lo_u32 v21, v21, 48
	v_mul_u32_u24_e32 v20, 48, v20
	v_mul_lo_u32 v32, v32, 48
	v_mul_lo_u32 v33, v33, 48
	s_delay_alu instid0(VALU_DEP_3) | instskip(SKIP_1) | instid1(VALU_DEP_4)
	v_or_b32_e32 v20, v20, v101
	v_or_b32_e32 v21, v21, v101
	;; [unrolled: 1-line block ×3, first 2 shown]
	s_delay_alu instid0(VALU_DEP_4) | instskip(NEXT) | instid1(VALU_DEP_4)
	v_or_b32_e32 v33, v33, v101
	v_lshl_add_u32 v118, v20, 3, 0
	s_delay_alu instid0(VALU_DEP_4) | instskip(NEXT) | instid1(VALU_DEP_4)
	v_lshl_add_u32 v117, v21, 3, 0
	v_lshl_add_u32 v116, v32, 3, 0
	s_delay_alu instid0(VALU_DEP_4)
	v_lshl_add_u32 v101, v33, 3, 0
	ds_store_2addr_b64 v118, v[34:35], v[52:53] offset1:16
	ds_store_b64 v118, v[2:3] offset:256
	ds_store_2addr_b64 v117, v[38:39], v[44:45] offset1:16
	ds_store_b64 v117, v[12:13] offset:256
	;; [unrolled: 2-line block ×5, first 2 shown]
	global_wb scope:SCOPE_SE
	s_wait_dscnt 0x0
	s_barrier_signal -1
	s_barrier_wait -1
	global_inv scope:SCOPE_SE
	ds_load_2addr_b64 v[20:23], v110 offset1:240
	ds_load_2addr_stride64_b64 v[52:55], v96 offset0:5 offset1:7
	ds_load_2addr_stride64_b64 v[48:51], v97 offset0:9 offset1:11
	;; [unrolled: 1-line block ×5, first 2 shown]
	ds_load_b64 v[76:77], v113
	ds_load_b64 v[84:85], v110 offset:12416
                                        ; implicit-def: $vgpr14_vgpr15
                                        ; implicit-def: $vgpr18_vgpr19
	s_and_saveexec_b32 s1, s0
	s_cbranch_execz .LBB0_45
; %bb.44:
	v_add_nc_u32_e32 v0, 0xe80, v98
	v_add_nc_u32_e32 v12, 0x1d80, v98
	;; [unrolled: 1-line block ×3, first 2 shown]
	ds_load_b64 v[72:73], v112
	ds_load_2addr_b64 v[0:3], v0 offset1:240
	ds_load_2addr_b64 v[16:19], v12 offset1:240
	ds_load_2addr_b64 v[12:15], v13 offset1:240
.LBB0_45:
	s_wait_alu 0xfffe
	s_or_b32 exec_lo, exec_lo, s1
	v_add_f64_e32 v[119:120], v[68:69], v[8:9]
	v_add_f64_e32 v[121:122], v[70:71], v[56:57]
	;; [unrolled: 1-line block ×6, first 2 shown]
	v_add_f64_e64 v[64:65], v[64:65], -v[66:67]
	v_add_f64_e32 v[66:67], v[90:91], v[70:71]
	v_add_f64_e32 v[70:71], v[26:27], v[74:75]
	;; [unrolled: 1-line block ×4, first 2 shown]
	v_add_f64_e64 v[28:29], v[28:29], -v[42:43]
	v_add_f64_e64 v[30:31], v[30:31], -v[58:59]
	;; [unrolled: 1-line block ×4, first 2 shown]
	global_wb scope:SCOPE_SE
	s_wait_dscnt 0x0
	s_barrier_signal -1
	s_barrier_wait -1
	global_inv scope:SCOPE_SE
	v_fma_f64 v[88:89], v[119:120], -0.5, v[92:93]
	v_fma_f64 v[42:43], v[121:122], -0.5, v[90:91]
	;; [unrolled: 1-line block ×5, first 2 shown]
	v_add_f64_e32 v[8:9], v[68:69], v[8:9]
	v_add_f64_e32 v[40:41], v[66:67], v[56:57]
	;; [unrolled: 1-line block ×5, first 2 shown]
	v_fma_f64 v[66:67], v[64:65], s[6:7], v[88:89]
	v_fma_f64 v[64:65], v[64:65], s[2:3], v[88:89]
	;; [unrolled: 1-line block ×10, first 2 shown]
	ds_store_2addr_b64 v118, v[8:9], v[66:67] offset1:16
	ds_store_b64 v118, v[64:65] offset:256
	ds_store_2addr_b64 v117, v[40:41], v[68:69] offset1:16
	ds_store_b64 v117, v[28:29] offset:256
	;; [unrolled: 2-line block ×5, first 2 shown]
	global_wb scope:SCOPE_SE
	s_wait_dscnt 0x0
	s_barrier_signal -1
	s_barrier_wait -1
	global_inv scope:SCOPE_SE
	ds_load_2addr_b64 v[8:11], v110 offset1:240
	ds_load_2addr_stride64_b64 v[68:71], v96 offset0:5 offset1:7
	ds_load_2addr_stride64_b64 v[64:67], v97 offset0:9 offset1:11
	;; [unrolled: 1-line block ×5, first 2 shown]
	ds_load_b64 v[74:75], v113
	ds_load_b64 v[80:81], v110 offset:12416
                                        ; implicit-def: $vgpr26_vgpr27
                                        ; implicit-def: $vgpr30_vgpr31
	s_and_saveexec_b32 s1, s0
	s_cbranch_execz .LBB0_47
; %bb.46:
	v_add_nc_u32_e32 v4, 0xe80, v98
	v_add_nc_u32_e32 v24, 0x1d80, v98
	;; [unrolled: 1-line block ×3, first 2 shown]
	ds_load_b64 v[82:83], v112
	ds_load_2addr_b64 v[4:7], v4 offset1:240
	ds_load_2addr_b64 v[28:31], v24 offset1:240
	;; [unrolled: 1-line block ×3, first 2 shown]
.LBB0_47:
	s_wait_alu 0xfffe
	s_or_b32 exec_lo, exec_lo, s1
	v_and_b32_e32 v86, 0xff, v104
	s_mov_b32 s12, 0x37e14327
	s_mov_b32 s2, 0x36b3c0b5
	;; [unrolled: 1-line block ×4, first 2 shown]
	v_mul_lo_u16 v86, 0xab, v86
	s_mov_b32 s3, 0x3fac98ee
	s_mov_b32 s15, 0xbfe11646
	;; [unrolled: 1-line block ×4, first 2 shown]
	v_lshrrev_b16 v116, 13, v86
	v_and_b32_e32 v86, 0xff, v109
	s_mov_b32 s16, 0x5476071b
	s_mov_b32 s24, 0xb247c609
	;; [unrolled: 1-line block ×3, first 2 shown]
	v_mul_lo_u16 v87, v116, 48
	v_mul_lo_u16 v86, 0xab, v86
	s_mov_b32 s17, 0x3fe77f67
	s_mov_b32 s19, 0xbfe77f67
	;; [unrolled: 1-line block ×3, first 2 shown]
	v_sub_nc_u16 v87, v104, v87
	v_lshrrev_b16 v118, 13, v86
	s_mov_b32 s21, 0xbff2aaaa
	s_wait_alu 0xfffe
	s_mov_b32 s18, s16
	s_mov_b32 s23, 0xbfd5d0dc
	v_and_b32_e32 v117, 0xff, v87
	v_mul_lo_u16 v86, v118, 48
	s_mov_b32 s22, s24
	s_mov_b32 s26, 0x37c3f68c
	;; [unrolled: 1-line block ×3, first 2 shown]
	v_mul_u32_u24_e32 v87, 6, v117
	v_sub_nc_u16 v86, v109, v86
	v_and_b32_e32 v116, 0xffff, v116
	v_and_b32_e32 v118, 0xffff, v118
	v_lshlrev_b32_e32 v117, 3, v117
	v_lshlrev_b32_e32 v120, 4, v87
	v_and_b32_e32 v119, 0xff, v86
	global_load_b128 v[86:89], v120, s[4:5] offset:752
	v_mul_u32_u24_e32 v90, 6, v119
	v_lshlrev_b32_e32 v119, 3, v119
	s_delay_alu instid0(VALU_DEP_2)
	v_lshlrev_b32_e32 v149, 4, v90
	s_clause 0xa
	global_load_b128 v[90:93], v149, s[4:5] offset:736
	global_load_b128 v[94:97], v120, s[4:5] offset:768
	;; [unrolled: 1-line block ×11, first 2 shown]
	v_and_b32_e32 v120, 0xffff, v111
	s_delay_alu instid0(VALU_DEP_1) | instskip(NEXT) | instid1(VALU_DEP_1)
	v_mul_u32_u24_e32 v120, 0xaaab, v120
	v_lshrrev_b32_e32 v120, 21, v120
	s_delay_alu instid0(VALU_DEP_1) | instskip(NEXT) | instid1(VALU_DEP_1)
	v_mul_lo_u16 v120, v120, 48
	v_sub_nc_u16 v120, v111, v120
	s_delay_alu instid0(VALU_DEP_1) | instskip(NEXT) | instid1(VALU_DEP_1)
	v_and_b32_e32 v120, 0xffff, v120
	v_mul_u32_u24_e32 v153, 6, v120
	s_delay_alu instid0(VALU_DEP_1)
	v_lshlrev_b32_e32 v173, 4, v153
	s_clause 0x5
	global_load_b128 v[153:156], v173, s[4:5] offset:736
	global_load_b128 v[157:160], v173, s[4:5] offset:752
	global_load_b128 v[161:164], v173, s[4:5] offset:768
	global_load_b128 v[165:168], v173, s[4:5] offset:784
	global_load_b128 v[169:172], v173, s[4:5] offset:800
	global_load_b128 v[173:176], v173, s[4:5] offset:816
	global_wb scope:SCOPE_SE
	s_wait_loadcnt_dscnt 0x0
	s_barrier_signal -1
	s_barrier_wait -1
	global_inv scope:SCOPE_SE
	v_mul_f64_e32 v[177:178], v[70:71], v[88:89]
	v_mul_f64_e32 v[88:89], v[54:55], v[88:89]
	;; [unrolled: 1-line block ×3, first 2 shown]
	s_delay_alu instid0(VALU_DEP_3) | instskip(NEXT) | instid1(VALU_DEP_3)
	v_fma_f64 v[54:55], v[54:55], v[86:87], -v[177:178]
	v_fma_f64 v[70:71], v[70:71], v[86:87], v[88:89]
	v_mul_f64_e32 v[86:87], v[52:53], v[92:93]
	v_mul_f64_e32 v[88:89], v[66:67], v[96:97]
	;; [unrolled: 1-line block ×3, first 2 shown]
	v_fma_f64 v[52:53], v[52:53], v[90:91], -v[179:180]
	v_mul_f64_e32 v[96:97], v[64:65], v[100:101]
	v_fma_f64 v[68:69], v[68:69], v[90:91], v[86:87]
	v_mul_f64_e32 v[86:87], v[48:49], v[100:101]
	v_mul_f64_e32 v[90:91], v[62:63], v[123:124]
	;; [unrolled: 1-line block ×4, first 2 shown]
	v_fma_f64 v[50:51], v[50:51], v[94:95], -v[88:89]
	v_fma_f64 v[66:67], v[66:67], v[94:95], v[92:93]
	v_mul_f64_e32 v[88:89], v[10:11], v[131:132]
	v_mul_f64_e32 v[92:93], v[42:43], v[135:136]
	;; [unrolled: 1-line block ×3, first 2 shown]
	v_fma_f64 v[48:49], v[48:49], v[98:99], -v[96:97]
	v_mul_f64_e32 v[96:97], v[44:45], v[127:128]
	v_mul_f64_e32 v[127:128], v[38:39], v[143:144]
	;; [unrolled: 1-line block ×3, first 2 shown]
	v_fma_f64 v[64:65], v[64:65], v[98:99], v[86:87]
	v_mul_f64_e32 v[98:99], v[58:59], v[143:144]
	v_mul_f64_e32 v[143:144], v[36:37], v[147:148]
	v_fma_f64 v[46:47], v[46:47], v[121:122], -v[90:91]
	v_fma_f64 v[86:87], v[62:63], v[121:122], v[100:101]
	v_mul_f64_e32 v[90:91], v[56:57], v[147:148]
	v_mul_f64_e32 v[100:101], v[22:23], v[131:132]
	v_fma_f64 v[44:45], v[44:45], v[125:126], -v[123:124]
	v_fma_f64 v[22:23], v[22:23], v[129:130], -v[88:89]
	;; [unrolled: 1-line block ×3, first 2 shown]
	v_mul_f64_e32 v[88:89], v[32:33], v[151:152]
	v_mul_f64_e32 v[92:93], v[40:41], v[151:152]
	v_fma_f64 v[62:63], v[84:85], v[137:138], -v[94:95]
	v_mul_f64_e32 v[94:95], v[84:85], v[139:140]
	v_fma_f64 v[60:61], v[60:61], v[125:126], v[96:97]
	v_fma_f64 v[84:85], v[42:43], v[133:134], v[135:136]
	;; [unrolled: 1-line block ×3, first 2 shown]
	v_mul_f64_e32 v[151:152], v[18:19], v[167:168]
	v_fma_f64 v[42:43], v[38:39], v[141:142], -v[98:99]
	v_fma_f64 v[38:39], v[56:57], v[145:146], v[143:144]
	v_fma_f64 v[36:37], v[36:37], v[145:146], -v[90:91]
	v_fma_f64 v[10:11], v[10:11], v[129:130], v[100:101]
	v_add_f64_e32 v[96:97], v[22:23], v[46:47]
	v_add_f64_e32 v[98:99], v[54:55], v[34:35]
	v_fma_f64 v[40:41], v[40:41], v[149:150], v[88:89]
	v_fma_f64 v[32:33], v[32:33], v[149:150], -v[92:93]
	v_add_f64_e32 v[88:89], v[48:49], v[44:45]
	v_fma_f64 v[56:57], v[80:81], v[137:138], v[94:95]
	v_add_f64_e32 v[80:81], v[52:53], v[62:63]
	v_add_f64_e64 v[90:91], v[70:71], -v[84:85]
	v_add_f64_e64 v[94:95], v[58:59], -v[66:67]
	;; [unrolled: 1-line block ×3, first 2 shown]
	v_mul_f64_e32 v[149:150], v[30:31], v[167:168]
	v_mul_f64_e32 v[167:168], v[26:27], v[175:176]
	v_fma_f64 v[30:31], v[30:31], v[165:166], v[151:152]
	v_add_f64_e32 v[92:93], v[50:51], v[42:43]
	v_add_f64_e64 v[100:101], v[10:11], -v[86:87]
	v_add_f64_e32 v[121:122], v[98:99], v[96:97]
	v_add_f64_e64 v[125:126], v[40:41], -v[38:39]
	;; [unrolled: 2-line block ×4, first 2 shown]
	v_add_f64_e64 v[133:134], v[96:97], -v[92:93]
	v_add_f64_e64 v[139:140], v[92:93], -v[98:99]
	;; [unrolled: 1-line block ×4, first 2 shown]
	v_add_f64_e32 v[90:91], v[94:95], v[90:91]
	v_add_f64_e64 v[94:95], v[100:101], -v[94:95]
	v_add_f64_e32 v[92:93], v[92:93], v[121:122]
	v_add_f64_e64 v[121:122], v[125:126], -v[123:124]
	v_add_f64_e64 v[141:142], v[80:81], -v[127:128]
	;; [unrolled: 1-line block ×4, first 2 shown]
	v_add_f64_e32 v[131:132], v[127:128], v[131:132]
	v_add_f64_e64 v[127:128], v[127:128], -v[88:89]
	v_add_f64_e32 v[123:124], v[125:126], v[123:124]
	v_mul_f64_e32 v[135:136], s[14:15], v[135:136]
	v_mul_f64_e32 v[133:134], s[12:13], v[133:134]
	;; [unrolled: 1-line block ×4, first 2 shown]
	v_add_f64_e32 v[90:91], v[90:91], v[100:101]
	v_add_f64_e32 v[147:148], v[20:21], v[92:93]
	v_mul_f64_e32 v[20:21], s[14:15], v[121:122]
	v_add_f64_e64 v[121:122], v[129:130], -v[125:126]
	v_mul_f64_e32 v[125:126], s[12:13], v[141:142]
	v_mul_f64_e32 v[141:142], s[6:7], v[143:144]
	v_add_f64_e32 v[76:77], v[76:77], v[131:132]
	v_mul_f64_e32 v[88:89], s[2:3], v[127:128]
	v_add_f64_e32 v[100:101], v[123:124], v[129:130]
	v_fma_f64 v[129:130], v[94:95], s[24:25], v[135:136]
	v_fma_f64 v[135:136], v[137:138], s[6:7], -v[135:136]
	v_mul_f64_e32 v[137:138], v[0:1], v[155:156]
	v_fma_f64 v[123:124], v[139:140], s[2:3], v[133:134]
	v_mul_f64_e32 v[139:140], v[6:7], v[159:160]
	s_wait_alu 0xfffe
	v_fma_f64 v[94:95], v[94:95], s[22:23], -v[98:99]
	v_fma_f64 v[98:99], v[96:97], s[16:17], -v[145:146]
	;; [unrolled: 1-line block ×3, first 2 shown]
	v_fma_f64 v[92:93], v[92:93], s[20:21], v[147:148]
	v_fma_f64 v[133:134], v[143:144], s[6:7], -v[20:21]
	v_fma_f64 v[20:21], v[121:122], s[24:25], v[20:21]
	v_fma_f64 v[127:128], v[127:128], s[2:3], v[125:126]
	v_fma_f64 v[125:126], v[80:81], s[18:19], -v[125:126]
	v_fma_f64 v[131:132], v[131:132], s[20:21], v[76:77]
	v_fma_f64 v[80:81], v[80:81], s[16:17], -v[88:89]
	v_fma_f64 v[121:122], v[121:122], s[22:23], -v[141:142]
	v_mul_f64_e32 v[88:89], v[4:5], v[155:156]
	v_mul_f64_e32 v[141:142], v[2:3], v[159:160]
	;; [unrolled: 1-line block ×6, first 2 shown]
	v_fma_f64 v[129:130], v[90:91], s[26:27], v[129:130]
	v_fma_f64 v[135:136], v[90:91], s[26:27], v[135:136]
	v_fma_f64 v[163:164], v[90:91], s[26:27], v[94:95]
	v_add_f64_e32 v[123:124], v[123:124], v[92:93]
	v_add_f64_e32 v[171:172], v[96:97], v[92:93]
	;; [unrolled: 1-line block ×3, first 2 shown]
	v_fma_f64 v[179:180], v[100:101], s[26:27], v[20:21]
	v_fma_f64 v[133:134], v[100:101], s[26:27], v[133:134]
	v_add_f64_e32 v[127:128], v[127:128], v[131:132]
	v_add_f64_e32 v[125:126], v[125:126], v[131:132]
	v_add_f64_e32 v[80:81], v[80:81], v[131:132]
	v_mul_f64_e32 v[131:132], v[14:15], v[175:176]
	v_fma_f64 v[121:122], v[100:101], s[26:27], v[121:122]
	v_fma_f64 v[20:21], v[0:1], v[153:154], -v[88:89]
	v_fma_f64 v[92:93], v[4:5], v[153:154], v[137:138]
	v_fma_f64 v[88:89], v[2:3], v[157:158], -v[139:140]
	;; [unrolled: 2-line block ×4, first 2 shown]
	v_fma_f64 v[98:99], v[12:13], v[169:170], -v[155:156]
	v_fma_f64 v[100:101], v[24:25], v[169:170], v[159:160]
	v_fma_f64 v[24:25], v[14:15], v[173:174], -v[167:168]
	v_add_f64_e32 v[0:1], v[129:130], v[123:124]
	v_add_f64_e32 v[2:3], v[163:164], v[171:172]
	v_add_f64_e64 v[4:5], v[177:178], -v[135:136]
	v_add_f64_e32 v[6:7], v[135:136], v[177:178]
	v_add_f64_e64 v[12:13], v[171:172], -v[163:164]
	v_add_f64_e64 v[14:15], v[123:124], -v[129:130]
	v_add_f64_e32 v[16:17], v[179:180], v[127:128]
	v_add_f64_e64 v[123:124], v[80:81], -v[133:134]
	v_fma_f64 v[26:27], v[26:27], v[173:174], v[131:132]
	v_add_f64_e32 v[18:19], v[121:122], v[125:126]
	v_add_f64_e32 v[80:81], v[133:134], v[80:81]
	v_add_f64_e64 v[121:122], v[125:126], -v[121:122]
	v_add_f64_e64 v[125:126], v[127:128], -v[179:180]
	v_mul_u32_u24_e32 v127, 0xa80, v116
	v_mul_u32_u24_e32 v128, 0xa80, v118
	v_lshl_add_u32 v116, v120, 3, 0
	s_delay_alu instid0(VALU_DEP_3) | instskip(NEXT) | instid1(VALU_DEP_3)
	v_add3_u32 v118, 0, v127, v117
	v_add3_u32 v117, 0, v128, v119
	ds_store_2addr_b64 v118, v[147:148], v[0:1] offset1:48
	ds_store_2addr_b64 v118, v[2:3], v[4:5] offset0:96 offset1:144
	ds_store_2addr_b64 v118, v[6:7], v[12:13] offset0:192 offset1:240
	ds_store_b64 v118, v[14:15] offset:2304
	ds_store_2addr_b64 v117, v[76:77], v[16:17] offset1:48
	ds_store_2addr_b64 v117, v[18:19], v[123:124] offset0:96 offset1:144
	ds_store_2addr_b64 v117, v[80:81], v[121:122] offset0:192 offset1:240
	ds_store_b64 v117, v[125:126] offset:2304
	s_and_saveexec_b32 s1, s0
	s_cbranch_execz .LBB0_49
; %bb.48:
	v_add_f64_e32 v[0:1], v[20:21], v[24:25]
	v_add_f64_e32 v[2:3], v[88:89], v[98:99]
	v_add_f64_e64 v[4:5], v[30:31], -v[96:97]
	v_add_f64_e64 v[6:7], v[94:95], -v[100:101]
	v_add_f64_e32 v[12:13], v[90:91], v[28:29]
	v_add_f64_e64 v[14:15], v[92:93], -v[26:27]
	v_add_f64_e32 v[16:17], v[2:3], v[0:1]
	s_delay_alu instid0(VALU_DEP_4) | instskip(NEXT) | instid1(VALU_DEP_4)
	v_add_f64_e64 v[18:19], v[4:5], -v[6:7]
	v_add_f64_e64 v[76:77], v[0:1], -v[12:13]
	s_delay_alu instid0(VALU_DEP_4)
	v_add_f64_e64 v[80:81], v[6:7], -v[14:15]
	v_add_f64_e64 v[119:120], v[14:15], -v[4:5]
	v_add_f64_e32 v[4:5], v[4:5], v[6:7]
	v_add_f64_e64 v[0:1], v[2:3], -v[0:1]
	v_add_f64_e32 v[16:17], v[12:13], v[16:17]
	v_add_f64_e64 v[12:13], v[12:13], -v[2:3]
	v_mul_f64_e32 v[2:3], s[14:15], v[18:19]
	v_mul_f64_e32 v[6:7], s[12:13], v[76:77]
	;; [unrolled: 1-line block ×3, first 2 shown]
	v_add_f64_e32 v[4:5], v[4:5], v[14:15]
	v_add_f64_e32 v[72:73], v[72:73], v[16:17]
	v_mul_f64_e32 v[76:77], s[2:3], v[12:13]
	v_fma_f64 v[14:15], v[119:120], s[24:25], v[2:3]
	v_fma_f64 v[121:122], v[0:1], s[18:19], -v[6:7]
	v_fma_f64 v[6:7], v[12:13], s[2:3], v[6:7]
	v_fma_f64 v[18:19], v[119:120], s[22:23], -v[18:19]
	v_fma_f64 v[2:3], v[80:81], s[6:7], -v[2:3]
	v_fma_f64 v[16:17], v[16:17], s[20:21], v[72:73]
	v_fma_f64 v[0:1], v[0:1], s[16:17], -v[76:77]
	v_fma_f64 v[12:13], v[4:5], s[26:27], v[14:15]
	v_fma_f64 v[14:15], v[4:5], s[26:27], v[18:19]
	v_fma_f64 v[2:3], v[4:5], s[26:27], v[2:3]
	v_add_f64_e32 v[6:7], v[6:7], v[16:17]
	v_add_f64_e32 v[4:5], v[121:122], v[16:17]
	;; [unrolled: 1-line block ×3, first 2 shown]
	s_delay_alu instid0(VALU_DEP_3) | instskip(NEXT) | instid1(VALU_DEP_3)
	v_add_f64_e32 v[76:77], v[12:13], v[6:7]
	v_add_f64_e64 v[16:17], v[4:5], -v[14:15]
	s_delay_alu instid0(VALU_DEP_3)
	v_add_f64_e64 v[18:19], v[0:1], -v[2:3]
	v_add_f64_e32 v[4:5], v[14:15], v[4:5]
	v_add_f64_e32 v[0:1], v[2:3], v[0:1]
	v_add_f64_e64 v[2:3], v[6:7], -v[12:13]
	v_add_nc_u32_e32 v6, 0x2800, v116
	v_add_nc_u32_e32 v7, 0x3000, v116
	ds_store_2addr_b64 v6, v[72:73], v[76:77] offset0:64 offset1:112
	ds_store_2addr_b64 v6, v[4:5], v[18:19] offset0:160 offset1:208
	ds_store_2addr_b64 v7, v[0:1], v[16:17] offset1:48
	ds_store_b64 v116, v[2:3] offset:13056
.LBB0_49:
	s_wait_alu 0xfffe
	s_or_b32 exec_lo, exec_lo, s1
	v_add_f64_e32 v[0:1], v[10:11], v[86:87]
	v_add_f64_e32 v[2:3], v[70:71], v[84:85]
	;; [unrolled: 1-line block ×5, first 2 shown]
	v_add_f64_e64 v[12:13], v[54:55], -v[34:35]
	v_add_f64_e64 v[14:15], v[42:43], -v[50:51]
	;; [unrolled: 1-line block ×4, first 2 shown]
	v_add_f64_e32 v[34:35], v[38:39], v[40:41]
	v_add_f64_e64 v[32:33], v[32:33], -v[36:37]
	v_add_f64_e64 v[36:37], v[52:53], -v[62:63]
	global_wb scope:SCOPE_SE
	s_wait_dscnt 0x0
	s_barrier_signal -1
	s_barrier_wait -1
	global_inv scope:SCOPE_SE
	v_add_f64_e32 v[18:19], v[2:3], v[0:1]
	v_add_f64_e32 v[38:39], v[6:7], v[4:5]
	v_add_f64_e64 v[40:41], v[0:1], -v[10:11]
	v_add_f64_e64 v[42:43], v[10:11], -v[2:3]
	;; [unrolled: 1-line block ×5, first 2 shown]
	v_add_f64_e32 v[2:3], v[14:15], v[12:13]
	v_add_f64_e64 v[48:49], v[32:33], -v[22:23]
	v_add_f64_e64 v[50:51], v[22:23], -v[36:37]
	;; [unrolled: 1-line block ×3, first 2 shown]
	v_add_f64_e32 v[14:15], v[32:33], v[22:23]
	v_add_f64_e32 v[10:11], v[10:11], v[18:19]
	v_add_f64_e64 v[18:19], v[4:5], -v[34:35]
	v_add_f64_e32 v[38:39], v[34:35], v[38:39]
	v_add_f64_e64 v[34:35], v[34:35], -v[6:7]
	v_mul_f64_e32 v[22:23], s[12:13], v[40:41]
	v_mul_f64_e32 v[40:41], s[2:3], v[42:43]
	;; [unrolled: 1-line block ×4, first 2 shown]
	v_add_f64_e64 v[4:5], v[6:7], -v[4:5]
	v_add_f64_e32 v[2:3], v[2:3], v[16:17]
	v_add_f64_e32 v[14:15], v[14:15], v[36:37]
	;; [unrolled: 1-line block ×3, first 2 shown]
	v_add_f64_e64 v[8:9], v[36:37], -v[32:33]
	v_mul_f64_e32 v[18:19], s[12:13], v[18:19]
	v_mul_f64_e32 v[32:33], s[14:15], v[48:49]
	;; [unrolled: 1-line block ×3, first 2 shown]
	v_add_f64_e32 v[56:57], v[74:75], v[38:39]
	v_mul_f64_e32 v[6:7], s[2:3], v[34:35]
	v_fma_f64 v[16:17], v[42:43], s[2:3], v[22:23]
	v_fma_f64 v[36:37], v[0:1], s[16:17], -v[40:41]
	v_fma_f64 v[40:41], v[12:13], s[24:25], v[44:45]
	v_fma_f64 v[42:43], v[46:47], s[6:7], -v[44:45]
	v_fma_f64 v[12:13], v[12:13], s[22:23], -v[52:53]
	v_fma_f64 v[0:1], v[0:1], s[18:19], -v[22:23]
	v_fma_f64 v[10:11], v[10:11], s[20:21], v[54:55]
	v_fma_f64 v[22:23], v[34:35], s[2:3], v[18:19]
	;; [unrolled: 1-line block ×3, first 2 shown]
	v_fma_f64 v[32:33], v[50:51], s[6:7], -v[32:33]
	v_fma_f64 v[8:9], v[8:9], s[22:23], -v[48:49]
	v_fma_f64 v[38:39], v[38:39], s[20:21], v[56:57]
	v_fma_f64 v[18:19], v[4:5], s[18:19], -v[18:19]
	v_fma_f64 v[4:5], v[4:5], s[16:17], -v[6:7]
	v_fma_f64 v[6:7], v[2:3], s[26:27], v[40:41]
	v_fma_f64 v[40:41], v[2:3], s[26:27], v[42:43]
	v_fma_f64 v[2:3], v[2:3], s[26:27], v[12:13]
	v_add_f64_e32 v[12:13], v[16:17], v[10:11]
	v_add_f64_e32 v[0:1], v[0:1], v[10:11]
	;; [unrolled: 1-line block ×3, first 2 shown]
	v_fma_f64 v[16:17], v[14:15], s[26:27], v[34:35]
	v_fma_f64 v[32:33], v[14:15], s[26:27], v[32:33]
	;; [unrolled: 1-line block ×3, first 2 shown]
	v_add_f64_e32 v[14:15], v[22:23], v[38:39]
	v_add_f64_e32 v[18:19], v[18:19], v[38:39]
	;; [unrolled: 1-line block ×3, first 2 shown]
	v_add_f64_e64 v[22:23], v[12:13], -v[6:7]
	v_add_f64_e64 v[34:35], v[0:1], -v[2:3]
	v_add_f64_e32 v[36:37], v[40:41], v[10:11]
	v_add_f64_e64 v[38:39], v[10:11], -v[40:41]
	v_add_f64_e32 v[40:41], v[2:3], v[0:1]
	v_add_f64_e32 v[42:43], v[6:7], v[12:13]
	v_add_f64_e64 v[44:45], v[14:15], -v[16:17]
	v_add_f64_e64 v[46:47], v[18:19], -v[8:9]
	v_add_f64_e32 v[48:49], v[32:33], v[4:5]
	v_add_f64_e64 v[32:33], v[4:5], -v[32:33]
	v_add_f64_e32 v[50:51], v[8:9], v[18:19]
	v_add_f64_e32 v[52:53], v[16:17], v[14:15]
	v_add_nc_u32_e32 v4, 0x1800, v110
	v_add_nc_u32_e32 v5, 0x2800, v110
	;; [unrolled: 1-line block ×4, first 2 shown]
	ds_load_2addr_stride64_b64 v[0:3], v110 offset1:7
	ds_load_b64 v[76:77], v115
	ds_load_b64 v[80:81], v114
	;; [unrolled: 1-line block ×4, first 2 shown]
	ds_load_b64 v[84:85], v110 offset:12544
	ds_load_2addr_b64 v[16:19], v4 offset0:128 offset1:240
	ds_load_2addr_b64 v[12:15], v5 offset0:64 offset1:176
	;; [unrolled: 1-line block ×4, first 2 shown]
	global_wb scope:SCOPE_SE
	s_wait_dscnt 0x0
	s_barrier_signal -1
	s_barrier_wait -1
	global_inv scope:SCOPE_SE
	ds_store_2addr_b64 v118, v[54:55], v[22:23] offset1:48
	ds_store_2addr_b64 v118, v[34:35], v[36:37] offset0:96 offset1:144
	ds_store_2addr_b64 v118, v[38:39], v[40:41] offset0:192 offset1:240
	ds_store_b64 v118, v[42:43] offset:2304
	ds_store_2addr_b64 v117, v[56:57], v[44:45] offset1:48
	ds_store_2addr_b64 v117, v[46:47], v[48:49] offset0:96 offset1:144
	ds_store_2addr_b64 v117, v[32:33], v[50:51] offset0:192 offset1:240
	ds_store_b64 v117, v[52:53] offset:2304
	s_and_saveexec_b32 s1, s0
	s_cbranch_execz .LBB0_51
; %bb.50:
	v_add_f64_e32 v[22:23], v[92:93], v[26:27]
	v_add_f64_e32 v[26:27], v[94:95], v[100:101]
	;; [unrolled: 1-line block ×3, first 2 shown]
	v_add_f64_e64 v[32:33], v[88:89], -v[98:99]
	v_add_f64_e64 v[28:29], v[28:29], -v[90:91]
	v_add_f64_e64 v[20:21], v[20:21], -v[24:25]
	s_mov_b32 s2, 0x37e14327
	s_mov_b32 s3, 0x3fe948f6
	;; [unrolled: 1-line block ×10, first 2 shown]
	v_add_f64_e32 v[24:25], v[26:27], v[22:23]
	v_add_f64_e64 v[34:35], v[22:23], -v[30:31]
	v_add_f64_e64 v[36:37], v[30:31], -v[26:27]
	;; [unrolled: 1-line block ×5, first 2 shown]
	v_add_f64_e32 v[26:27], v[28:29], v[32:33]
	v_add_f64_e64 v[28:29], v[20:21], -v[28:29]
	v_add_f64_e32 v[24:25], v[30:31], v[24:25]
	s_wait_alu 0xfffe
	v_mul_f64_e32 v[30:31], s[2:3], v[34:35]
	s_mov_b32 s2, 0x429ad128
	v_mul_f64_e32 v[32:33], s[6:7], v[36:37]
	v_mul_f64_e32 v[34:35], s[12:13], v[38:39]
	s_mov_b32 s3, 0x3febfeb5
	s_mov_b32 s12, 0xaaaaaaaa
	s_wait_alu 0xfffe
	v_mul_f64_e32 v[38:39], s[2:3], v[40:41]
	s_mov_b32 s13, 0xbff2aaaa
	v_add_f64_e32 v[20:21], v[26:27], v[20:21]
	v_add_f64_e32 v[42:43], v[82:83], v[24:25]
	v_fma_f64 v[26:27], v[36:37], s[6:7], v[30:31]
	v_fma_f64 v[32:33], v[22:23], s[14:15], -v[32:33]
	s_mov_b32 s15, 0xbfe77f67
	v_fma_f64 v[36:37], v[28:29], s[16:17], v[34:35]
	s_mov_b32 s17, 0xbfd5d0dc
	v_fma_f64 v[34:35], v[40:41], s[2:3], -v[34:35]
	s_wait_alu 0xfffe
	v_fma_f64 v[28:29], v[28:29], s[16:17], -v[38:39]
	v_fma_f64 v[22:23], v[22:23], s[14:15], -v[30:31]
	s_mov_b32 s2, 0x37c3f68c
	s_mov_b32 s3, 0x3fdc38aa
	v_fma_f64 v[24:25], v[24:25], s[12:13], v[42:43]
	s_wait_alu 0xfffe
	v_fma_f64 v[30:31], v[20:21], s[2:3], v[36:37]
	v_fma_f64 v[34:35], v[20:21], s[2:3], v[34:35]
	;; [unrolled: 1-line block ×3, first 2 shown]
	s_delay_alu instid0(VALU_DEP_4) | instskip(SKIP_2) | instid1(VALU_DEP_3)
	v_add_f64_e32 v[26:27], v[26:27], v[24:25]
	v_add_f64_e32 v[22:23], v[22:23], v[24:25]
	;; [unrolled: 1-line block ×3, first 2 shown]
	v_add_f64_e64 v[28:29], v[26:27], -v[30:31]
	s_delay_alu instid0(VALU_DEP_3) | instskip(NEXT) | instid1(VALU_DEP_3)
	v_add_f64_e64 v[32:33], v[22:23], -v[20:21]
	v_add_f64_e32 v[36:37], v[34:35], v[24:25]
	v_add_f64_e64 v[24:25], v[24:25], -v[34:35]
	v_add_f64_e32 v[20:21], v[20:21], v[22:23]
	v_add_f64_e32 v[22:23], v[30:31], v[26:27]
	v_add_nc_u32_e32 v26, 0x2800, v116
	v_add_nc_u32_e32 v27, 0x3000, v116
	ds_store_2addr_b64 v26, v[42:43], v[28:29] offset0:64 offset1:112
	ds_store_2addr_b64 v26, v[32:33], v[36:37] offset0:160 offset1:208
	ds_store_2addr_b64 v27, v[24:25], v[20:21] offset1:48
	ds_store_b64 v116, v[22:23] offset:13056
.LBB0_51:
	s_wait_alu 0xfffe
	s_or_b32 exec_lo, exec_lo, s1
	global_wb scope:SCOPE_SE
	s_wait_dscnt 0x0
	s_barrier_signal -1
	s_barrier_wait -1
	global_inv scope:SCOPE_SE
	s_and_saveexec_b32 s0, vcc_lo
	s_cbranch_execz .LBB0_53
; %bb.52:
	v_dual_mov_b32 v21, 0 :: v_dual_lshlrev_b32 v20, 2, v111
	v_add_nc_u32_e32 v140, 0x3f0, v104
	v_add_nc_u32_e32 v141, 0x540, v104
	;; [unrolled: 1-line block ×4, first 2 shown]
	v_lshlrev_b64_e32 v[22:23], 4, v[20:21]
	v_mad_co_u64_u32 v[129:130], null, s8, v140, 0
	v_lshlrev_b32_e32 v20, 2, v109
	v_mad_co_u64_u32 v[131:132], null, s8, v141, 0
	s_delay_alu instid0(VALU_DEP_4) | instskip(NEXT) | instid1(VALU_DEP_3)
	v_add_co_u32 v22, vcc_lo, s4, v22
	v_lshlrev_b64_e32 v[24:25], 4, v[20:21]
	v_lshlrev_b32_e32 v20, 2, v104
	s_wait_alu 0xfffd
	v_add_co_ci_u32_e32 v23, vcc_lo, s5, v23, vcc_lo
	s_clause 0x3
	global_load_b128 v[44:47], v[22:23], off offset:5392
	global_load_b128 v[40:43], v[22:23], off offset:5376
	;; [unrolled: 1-line block ×4, first 2 shown]
	v_lshlrev_b64_e32 v[20:21], 4, v[20:21]
	v_add_co_u32 v22, vcc_lo, s4, v24
	s_wait_alu 0xfffd
	v_add_co_ci_u32_e32 v23, vcc_lo, s5, v25, vcc_lo
	v_mad_co_u64_u32 v[135:136], null, s8, v143, 0
	s_delay_alu instid0(VALU_DEP_4)
	v_add_co_u32 v20, vcc_lo, s4, v20
	s_wait_alu 0xfffd
	v_add_co_ci_u32_e32 v21, vcc_lo, s5, v21, vcc_lo
	s_clause 0x7
	global_load_b128 v[24:27], v[22:23], off offset:5360
	global_load_b128 v[60:63], v[22:23], off offset:5344
	;; [unrolled: 1-line block ×8, first 2 shown]
	v_add_nc_u32_e32 v97, 0x1800, v110
	v_mad_co_u64_u32 v[133:134], null, s8, v142, 0
	v_add_nc_u32_e32 v96, 0x1100, v110
	v_add_nc_u32_e32 v98, 0x2000, v110
	;; [unrolled: 1-line block ×3, first 2 shown]
	ds_load_b64 v[88:89], v110 offset:12544
	ds_load_2addr_stride64_b64 v[20:23], v110 offset1:7
	ds_load_b64 v[92:93], v114
	ds_load_b64 v[86:87], v112
	;; [unrolled: 1-line block ×4, first 2 shown]
	ds_load_2addr_b64 v[109:112], v97 offset0:128 offset1:240
	ds_load_2addr_b64 v[113:116], v96 offset0:16 offset1:240
	;; [unrolled: 1-line block ×4, first 2 shown]
	v_mad_co_u64_u32 v[94:95], null, s8, v104, 0
	v_mad_co_u64_u32 v[123:124], null, s8, v103, 0
	;; [unrolled: 1-line block ×6, first 2 shown]
	v_lshrrev_b32_e32 v137, 4, v102
	v_add_co_u32 v78, vcc_lo, s10, v78
	s_wait_alu 0xfffd
	v_add_co_ci_u32_e32 v79, vcc_lo, s11, v79, vcc_lo
	s_delay_alu instid0(VALU_DEP_3)
	v_mul_hi_u32 v144, 0x18618619, v137
	s_mov_b32 s2, 0x134454ff
	s_wait_dscnt 0x0
	v_mad_co_u64_u32 v[137:138], null, s9, v104, v[95:96]
	v_mad_co_u64_u32 v[103:104], null, s9, v103, v[124:125]
	;; [unrolled: 1-line block ×4, first 2 shown]
	v_mov_b32_e32 v95, v130
	v_mad_co_u64_u32 v[104:105], null, s9, v105, v[126:127]
	v_mov_b32_e32 v101, v132
	v_mad_co_u64_u32 v[107:108], null, s9, v108, v[128:129]
	v_dual_mov_b32 v105, v134 :: v_dual_mov_b32 v108, v136
	v_mad_co_u64_u32 v[139:140], null, s9, v140, v[95:96]
	v_mov_b32_e32 v124, v103
	v_mad_co_u64_u32 v[140:141], null, s9, v141, v[101:102]
	s_delay_alu instid0(VALU_DEP_4)
	v_mad_co_u64_u32 v[141:142], null, s9, v142, v[105:106]
	v_mov_b32_e32 v126, v104
	v_mad_co_u64_u32 v[142:143], null, s9, v143, v[108:109]
	v_lshrrev_b32_e32 v122, 1, v144
	v_mov_b32_e32 v95, v137
	v_dual_mov_b32 v101, v138 :: v_dual_mov_b32 v134, v141
	v_mov_b32_e32 v130, v139
	s_delay_alu instid0(VALU_DEP_4)
	v_mad_u32_u24 v165, 0x540, v122, v102
	v_mov_b32_e32 v122, v106
	v_mov_b32_e32 v136, v142
	v_lshlrev_b64_e32 v[94:95], 4, v[94:95]
	v_lshlrev_b64_e32 v[100:101], 4, v[100:101]
	v_dual_mov_b32 v128, v107 :: v_dual_add_nc_u32 v167, 0x150, v165
	v_lshlrev_b64_e32 v[104:105], 4, v[121:122]
	v_mad_co_u64_u32 v[102:103], null, s8, v165, 0
	v_add_co_u32 v94, vcc_lo, v78, v94
	s_wait_alu 0xfffd
	v_add_co_ci_u32_e32 v95, vcc_lo, v79, v95, vcc_lo
	v_add_co_u32 v100, vcc_lo, v78, v100
	s_wait_alu 0xfffd
	v_add_co_ci_u32_e32 v101, vcc_lo, v79, v101, vcc_lo
	v_lshlrev_b64_e32 v[121:122], 4, v[125:126]
	v_mad_co_u64_u32 v[125:126], null, s8, v167, 0
	v_add_co_u32 v104, vcc_lo, v78, v104
	v_add_nc_u32_e32 v168, 0x2a0, v165
	v_add_nc_u32_e32 v169, 0x3f0, v165
	;; [unrolled: 1-line block ×3, first 2 shown]
	s_delay_alu instid0(VALU_DEP_4)
	v_mad_co_u64_u32 v[165:166], null, s9, v165, v[103:104]
	v_mov_b32_e32 v103, v126
	v_lshlrev_b64_e32 v[106:107], 4, v[123:124]
	v_lshlrev_b64_e32 v[123:124], 4, v[127:128]
	v_mov_b32_e32 v132, v140
	v_mad_co_u64_u32 v[139:140], null, s8, v170, 0
	s_wait_alu 0xfffd
	v_add_co_ci_u32_e32 v105, vcc_lo, v79, v105, vcc_lo
	v_add_co_u32 v106, vcc_lo, v78, v106
	s_wait_alu 0xfffd
	v_add_co_ci_u32_e32 v107, vcc_lo, v79, v107, vcc_lo
	v_lshlrev_b64_e32 v[129:130], 4, v[129:130]
	v_add_co_u32 v121, vcc_lo, v78, v121
	s_wait_alu 0xfffd
	v_add_co_ci_u32_e32 v122, vcc_lo, v79, v122, vcc_lo
	v_lshlrev_b64_e32 v[131:132], 4, v[131:132]
	;; [unrolled: 4-line block ×3, first 2 shown]
	v_mad_co_u64_u32 v[137:138], null, s8, v169, 0
	s_mov_b32 s3, 0xbfee6f0e
	s_mov_b32 s7, 0x3fee6f0e
	s_wait_alu 0xfffe
	s_mov_b32 s6, s2
	s_mov_b32 s4, 0x4755a5e
	;; [unrolled: 1-line block ×4, first 2 shown]
	v_mov_b32_e32 v126, v138
	s_wait_alu 0xfffe
	s_mov_b32 s10, s4
	s_mov_b32 s0, 0x372fe950
	;; [unrolled: 1-line block ×3, first 2 shown]
	v_lshlrev_b64_e32 v[135:136], 4, v[135:136]
	s_wait_loadcnt 0xb
	v_mul_f64_e32 v[147:148], v[44:45], v[88:89]
	s_wait_loadcnt 0xa
	v_mul_f64_e32 v[145:146], v[40:41], v[119:120]
	;; [unrolled: 2-line block ×4, first 2 shown]
	v_mul_f64_e32 v[108:109], v[50:51], v[109:110]
	v_mul_f64_e32 v[119:120], v[42:43], v[119:120]
	v_mul_f64_e32 v[113:114], v[70:71], v[113:114]
	v_mul_f64_e32 v[88:89], v[46:47], v[88:89]
	s_wait_loadcnt 0x7
	v_mul_f64_e32 v[149:150], v[24:25], v[115:116]
	s_wait_loadcnt 0x6
	v_mul_f64_e32 v[151:152], v[60:61], v[22:23]
	;; [unrolled: 2-line block ×4, first 2 shown]
	v_mul_f64_e32 v[22:23], v[62:63], v[22:23]
	s_wait_loadcnt 0x3
	v_mul_f64_e32 v[157:158], v[64:65], v[92:93]
	s_wait_loadcnt 0x2
	;; [unrolled: 2-line block ×4, first 2 shown]
	v_mul_f64_e32 v[163:164], v[52:53], v[111:112]
	v_mul_f64_e32 v[90:91], v[58:59], v[90:91]
	;; [unrolled: 1-line block ×8, first 2 shown]
	v_fma_f64 v[46:47], v[84:85], v[46:47], v[147:148]
	v_fma_f64 v[42:43], v[10:11], v[42:43], v[145:146]
	;; [unrolled: 1-line block ×4, first 2 shown]
	v_fma_f64 v[16:17], v[16:17], v[48:49], -v[108:109]
	v_fma_f64 v[10:11], v[10:11], v[40:41], -v[119:120]
	;; [unrolled: 1-line block ×4, first 2 shown]
	v_fma_f64 v[26:27], v[6:7], v[26:27], v[149:150]
	v_fma_f64 v[40:41], v[2:3], v[62:63], v[151:152]
	;; [unrolled: 1-line block ×4, first 2 shown]
	v_fma_f64 v[2:3], v[2:3], v[60:61], -v[22:23]
	v_fma_f64 v[22:23], v[80:81], v[66:67], v[157:158]
	v_fma_f64 v[38:39], v[12:13], v[38:39], v[159:160]
	;; [unrolled: 1-line block ×4, first 2 shown]
	v_fma_f64 v[56:57], v[76:77], v[56:57], -v[90:91]
	v_fma_f64 v[18:19], v[18:19], v[52:53], -v[110:111]
	;; [unrolled: 1-line block ×7, first 2 shown]
	v_mad_co_u64_u32 v[24:25], null, s9, v167, v[103:104]
	v_mov_b32_e32 v103, v165
	v_mad_co_u64_u32 v[127:128], null, s8, v168, 0
	v_add_co_u32 v60, vcc_lo, v78, v129
	s_wait_alu 0xfffd
	v_add_co_ci_u32_e32 v61, vcc_lo, v79, v130, vcc_lo
	v_add_co_u32 v62, vcc_lo, v78, v131
	s_delay_alu instid0(VALU_DEP_4)
	v_mov_b32_e32 v112, v128
	v_mov_b32_e32 v128, v140
	s_wait_alu 0xfffd
	v_add_co_ci_u32_e32 v63, vcc_lo, v79, v132, vcc_lo
	v_add_co_u32 v64, vcc_lo, v78, v133
	v_add_f64_e32 v[52:53], v[70:71], v[46:47]
	v_add_f64_e32 v[68:69], v[50:51], v[42:43]
	v_mad_co_u64_u32 v[28:29], null, s9, v168, v[112:113]
	v_mad_co_u64_u32 v[36:37], null, s9, v170, v[128:129]
	v_add_f64_e32 v[80:81], v[4:5], v[44:45]
	v_add_f64_e32 v[90:91], v[26:27], v[30:31]
	;; [unrolled: 1-line block ×4, first 2 shown]
	v_mad_co_u64_u32 v[32:33], null, s9, v169, v[126:127]
	v_add_f64_e32 v[92:93], v[22:23], v[38:39]
	v_add_f64_e32 v[98:99], v[58:59], v[54:55]
	;; [unrolled: 1-line block ×11, first 2 shown]
	v_add_f64_e64 v[66:67], v[50:51], -v[70:71]
	v_add_f64_e64 v[76:77], v[42:43], -v[46:47]
	;; [unrolled: 1-line block ×8, first 2 shown]
	v_add_f64_e32 v[142:143], v[70:71], v[86:87]
	v_add_f64_e64 v[144:145], v[16:17], -v[10:11]
	v_add_f64_e64 v[4:5], v[4:5], -v[44:45]
	;; [unrolled: 1-line block ×6, first 2 shown]
	v_fma_f64 v[52:53], v[52:53], -0.5, v[86:87]
	v_fma_f64 v[68:69], v[68:69], -0.5, v[86:87]
	v_add_f64_e64 v[86:87], v[56:57], -v[18:19]
	v_add_f64_e64 v[158:159], v[6:7], -v[2:3]
	;; [unrolled: 1-line block ×6, first 2 shown]
	v_fma_f64 v[84:85], v[84:85], -0.5, v[82:83]
	v_fma_f64 v[82:83], v[90:91], -0.5, v[82:83]
	v_add_f64_e64 v[146:147], v[50:51], -v[42:43]
	v_fma_f64 v[80:81], v[80:81], -0.5, v[72:73]
	v_fma_f64 v[90:91], v[92:93], -0.5, v[20:21]
	v_add_f64_e64 v[92:93], v[22:23], -v[38:39]
	;; [unrolled: 3-line block ×3, first 2 shown]
	v_fma_f64 v[0:1], v[112:113], -0.5, v[0:1]
	v_add_f64_e64 v[70:71], v[70:71], -v[46:47]
	v_fma_f64 v[128:129], v[128:129], -0.5, v[74:75]
	v_fma_f64 v[74:75], v[130:131], -0.5, v[74:75]
	;; [unrolled: 1-line block ×3, first 2 shown]
	v_add_f64_e64 v[130:131], v[58:59], -v[22:23]
	v_add_f64_e64 v[22:23], v[22:23], -v[58:59]
	;; [unrolled: 1-line block ×4, first 2 shown]
	v_add_f64_e32 v[16:17], v[16:17], v[140:141]
	v_add_f64_e32 v[25:26], v[26:27], v[156:157]
	;; [unrolled: 1-line block ×5, first 2 shown]
	v_add_f64_e64 v[150:151], v[30:31], -v[34:35]
	v_add_f64_e64 v[154:155], v[34:35], -v[30:31]
	v_add_f64_e64 v[160:161], v[8:9], -v[14:15]
	v_add_f64_e64 v[132:133], v[38:39], -v[54:55]
	v_add_f64_e64 v[182:183], v[12:13], -v[18:19]
	v_add_f64_e32 v[66:67], v[66:67], v[76:77]
	v_add_f64_e32 v[76:77], v[88:89], v[96:97]
	;; [unrolled: 1-line block ×5, first 2 shown]
	v_fma_f64 v[108:109], v[144:145], s[2:3], v[52:53]
	v_fma_f64 v[52:53], v[144:145], s[6:7], v[52:53]
	;; [unrolled: 1-line block ×3, first 2 shown]
	v_add_f64_e64 v[176:177], v[54:55], -v[38:39]
	v_add_f64_e64 v[180:181], v[18:19], -v[12:13]
	v_fma_f64 v[118:119], v[166:167], s[2:3], v[84:85]
	v_fma_f64 v[84:85], v[166:167], s[6:7], v[84:85]
	v_add_f64_e64 v[112:113], v[14:15], -v[8:9]
	v_fma_f64 v[140:141], v[2:3], s[6:7], v[82:83]
	v_fma_f64 v[142:143], v[86:87], s[2:3], v[90:91]
	;; [unrolled: 1-line block ×19, first 2 shown]
	v_add_f64_e32 v[10:11], v[16:17], v[10:11]
	v_add_f64_e32 v[16:17], v[30:31], v[25:26]
	v_add_f64_e32 v[8:9], v[6:7], v[8:9]
	v_add_f64_e32 v[25:26], v[54:55], v[58:59]
	v_add_f64_e32 v[18:19], v[56:57], v[18:19]
	v_add_f64_e32 v[148:149], v[148:149], v[150:151]
	v_add_f64_e32 v[150:151], v[152:153], v[154:155]
	v_add_f64_e32 v[152:153], v[158:159], v[160:161]
	v_add_f64_e32 v[132:133], v[22:23], v[132:133]
	v_add_f64_e32 v[158:159], v[48:49], v[182:183]
	v_add_f64_e32 v[22:23], v[42:43], v[50:51]
	v_fma_f64 v[29:30], v[4:5], s[4:5], v[108:109]
	s_wait_alu 0xfffe
	v_fma_f64 v[42:43], v[4:5], s[10:11], v[52:53]
	v_fma_f64 v[48:49], v[144:145], s[4:5], v[114:115]
	v_add_f64_e32 v[130:131], v[130:131], v[176:177]
	v_add_f64_e32 v[154:155], v[178:179], v[180:181]
	v_fma_f64 v[50:51], v[2:3], s[4:5], v[118:119]
	v_fma_f64 v[52:53], v[2:3], s[10:11], v[84:85]
	v_add_f64_e32 v[112:113], v[162:163], v[112:113]
	v_fma_f64 v[54:55], v[166:167], s[4:5], v[140:141]
	v_fma_f64 v[58:59], v[172:173], s[4:5], v[142:143]
	;; [unrolled: 1-line block ×19, first 2 shown]
	v_add_f64_e32 v[0:1], v[10:11], v[44:45]
	v_mov_b32_e32 v140, v36
	v_add_f64_e32 v[4:5], v[8:9], v[14:15]
	v_add_f64_e32 v[10:11], v[38:39], v[25:26]
	;; [unrolled: 1-line block ×4, first 2 shown]
	v_mov_b32_e32 v128, v28
	v_mov_b32_e32 v126, v24
	;; [unrolled: 1-line block ×3, first 2 shown]
	v_lshlrev_b64_e32 v[102:103], 4, v[102:103]
	v_add_f64_e32 v[2:3], v[46:47], v[22:23]
	v_fma_f64 v[14:15], v[66:67], s[0:1], v[29:30]
	v_fma_f64 v[18:19], v[66:67], s[0:1], v[42:43]
	;; [unrolled: 1-line block ×3, first 2 shown]
	s_wait_alu 0xfffd
	v_add_co_ci_u32_e32 v65, vcc_lo, v79, v134, vcc_lo
	v_fma_f64 v[26:27], v[148:149], s[0:1], v[50:51]
	v_fma_f64 v[30:31], v[148:149], s[0:1], v[52:53]
	v_add_co_u32 v118, vcc_lo, v78, v135
	v_fma_f64 v[38:39], v[130:131], s[0:1], v[58:59]
	v_fma_f64 v[42:43], v[130:131], s[0:1], v[84:85]
	v_fma_f64 v[46:47], v[132:133], s[0:1], v[90:91]
	v_fma_f64 v[50:51], v[132:133], s[0:1], v[20:21]
	v_fma_f64 v[48:49], v[158:159], s[0:1], v[86:87]
	v_fma_f64 v[40:41], v[154:155], s[0:1], v[108:109]
	v_fma_f64 v[36:37], v[154:155], s[0:1], v[92:93]
	v_fma_f64 v[44:45], v[158:159], s[0:1], v[98:99]
	v_fma_f64 v[34:35], v[150:151], s[0:1], v[54:55]
	v_fma_f64 v[54:55], v[150:151], s[0:1], v[82:83]
	v_fma_f64 v[52:53], v[112:113], s[0:1], v[110:111]
	v_fma_f64 v[28:29], v[152:153], s[0:1], v[114:115]
	v_fma_f64 v[24:25], v[152:153], s[0:1], v[74:75]
	v_fma_f64 v[58:59], v[76:77], s[0:1], v[56:57]
	v_fma_f64 v[32:33], v[112:113], s[0:1], v[116:117]
	v_fma_f64 v[16:17], v[88:89], s[0:1], v[70:71]
	v_fma_f64 v[56:57], v[96:97], s[0:1], v[80:81]
	v_fma_f64 v[12:13], v[88:89], s[0:1], v[68:69]
	v_fma_f64 v[20:21], v[96:97], s[0:1], v[72:73]
	v_lshlrev_b64_e32 v[125:126], 4, v[125:126]
	s_wait_alu 0xfffd
	v_add_co_ci_u32_e32 v119, vcc_lo, v79, v136, vcc_lo
	v_lshlrev_b64_e32 v[66:67], 4, v[127:128]
	v_add_co_u32 v72, vcc_lo, v78, v102
	s_wait_alu 0xfffd
	v_add_co_ci_u32_e32 v73, vcc_lo, v79, v103, vcc_lo
	v_lshlrev_b64_e32 v[68:69], 4, v[137:138]
	v_add_co_u32 v74, vcc_lo, v78, v125
	;; [unrolled: 4-line block ×3, first 2 shown]
	s_wait_alu 0xfffd
	v_add_co_ci_u32_e32 v67, vcc_lo, v79, v67, vcc_lo
	v_add_co_u32 v68, vcc_lo, v78, v68
	s_wait_alu 0xfffd
	v_add_co_ci_u32_e32 v69, vcc_lo, v79, v69, vcc_lo
	v_add_co_u32 v70, vcc_lo, v78, v70
	s_wait_alu 0xfffd
	v_add_co_ci_u32_e32 v71, vcc_lo, v79, v71, vcc_lo
	s_clause 0xe
	global_store_b128 v[94:95], v[8:11], off
	global_store_b128 v[100:101], v[48:51], off
	;; [unrolled: 1-line block ×15, first 2 shown]
.LBB0_53:
	s_nop 0
	s_sendmsg sendmsg(MSG_DEALLOC_VGPRS)
	s_endpgm
	.section	.rodata,"a",@progbits
	.p2align	6, 0x0
	.amdhsa_kernel fft_rtc_fwd_len1680_factors_2_2_2_2_3_7_5_wgs_112_tpt_112_halfLds_dp_ip_CI_sbrr_dirReg
		.amdhsa_group_segment_fixed_size 0
		.amdhsa_private_segment_fixed_size 0
		.amdhsa_kernarg_size 88
		.amdhsa_user_sgpr_count 2
		.amdhsa_user_sgpr_dispatch_ptr 0
		.amdhsa_user_sgpr_queue_ptr 0
		.amdhsa_user_sgpr_kernarg_segment_ptr 1
		.amdhsa_user_sgpr_dispatch_id 0
		.amdhsa_user_sgpr_private_segment_size 0
		.amdhsa_wavefront_size32 1
		.amdhsa_uses_dynamic_stack 0
		.amdhsa_enable_private_segment 0
		.amdhsa_system_sgpr_workgroup_id_x 1
		.amdhsa_system_sgpr_workgroup_id_y 0
		.amdhsa_system_sgpr_workgroup_id_z 0
		.amdhsa_system_sgpr_workgroup_info 0
		.amdhsa_system_vgpr_workitem_id 0
		.amdhsa_next_free_vgpr 188
		.amdhsa_next_free_sgpr 35
		.amdhsa_reserve_vcc 1
		.amdhsa_float_round_mode_32 0
		.amdhsa_float_round_mode_16_64 0
		.amdhsa_float_denorm_mode_32 3
		.amdhsa_float_denorm_mode_16_64 3
		.amdhsa_fp16_overflow 0
		.amdhsa_workgroup_processor_mode 1
		.amdhsa_memory_ordered 1
		.amdhsa_forward_progress 0
		.amdhsa_round_robin_scheduling 0
		.amdhsa_exception_fp_ieee_invalid_op 0
		.amdhsa_exception_fp_denorm_src 0
		.amdhsa_exception_fp_ieee_div_zero 0
		.amdhsa_exception_fp_ieee_overflow 0
		.amdhsa_exception_fp_ieee_underflow 0
		.amdhsa_exception_fp_ieee_inexact 0
		.amdhsa_exception_int_div_zero 0
	.end_amdhsa_kernel
	.text
.Lfunc_end0:
	.size	fft_rtc_fwd_len1680_factors_2_2_2_2_3_7_5_wgs_112_tpt_112_halfLds_dp_ip_CI_sbrr_dirReg, .Lfunc_end0-fft_rtc_fwd_len1680_factors_2_2_2_2_3_7_5_wgs_112_tpt_112_halfLds_dp_ip_CI_sbrr_dirReg
                                        ; -- End function
	.section	.AMDGPU.csdata,"",@progbits
; Kernel info:
; codeLenInByte = 14984
; NumSgprs: 37
; NumVgprs: 188
; ScratchSize: 0
; MemoryBound: 1
; FloatMode: 240
; IeeeMode: 1
; LDSByteSize: 0 bytes/workgroup (compile time only)
; SGPRBlocks: 4
; VGPRBlocks: 23
; NumSGPRsForWavesPerEU: 37
; NumVGPRsForWavesPerEU: 188
; Occupancy: 8
; WaveLimiterHint : 1
; COMPUTE_PGM_RSRC2:SCRATCH_EN: 0
; COMPUTE_PGM_RSRC2:USER_SGPR: 2
; COMPUTE_PGM_RSRC2:TRAP_HANDLER: 0
; COMPUTE_PGM_RSRC2:TGID_X_EN: 1
; COMPUTE_PGM_RSRC2:TGID_Y_EN: 0
; COMPUTE_PGM_RSRC2:TGID_Z_EN: 0
; COMPUTE_PGM_RSRC2:TIDIG_COMP_CNT: 0
	.text
	.p2alignl 7, 3214868480
	.fill 96, 4, 3214868480
	.type	__hip_cuid_286a03be0e4cb490,@object ; @__hip_cuid_286a03be0e4cb490
	.section	.bss,"aw",@nobits
	.globl	__hip_cuid_286a03be0e4cb490
__hip_cuid_286a03be0e4cb490:
	.byte	0                               ; 0x0
	.size	__hip_cuid_286a03be0e4cb490, 1

	.ident	"AMD clang version 19.0.0git (https://github.com/RadeonOpenCompute/llvm-project roc-6.4.0 25133 c7fe45cf4b819c5991fe208aaa96edf142730f1d)"
	.section	".note.GNU-stack","",@progbits
	.addrsig
	.addrsig_sym __hip_cuid_286a03be0e4cb490
	.amdgpu_metadata
---
amdhsa.kernels:
  - .args:
      - .actual_access:  read_only
        .address_space:  global
        .offset:         0
        .size:           8
        .value_kind:     global_buffer
      - .offset:         8
        .size:           8
        .value_kind:     by_value
      - .actual_access:  read_only
        .address_space:  global
        .offset:         16
        .size:           8
        .value_kind:     global_buffer
      - .actual_access:  read_only
        .address_space:  global
        .offset:         24
        .size:           8
        .value_kind:     global_buffer
      - .offset:         32
        .size:           8
        .value_kind:     by_value
      - .actual_access:  read_only
        .address_space:  global
        .offset:         40
        .size:           8
        .value_kind:     global_buffer
      - .actual_access:  read_only
        .address_space:  global
        .offset:         48
        .size:           8
        .value_kind:     global_buffer
      - .offset:         56
        .size:           4
        .value_kind:     by_value
      - .actual_access:  read_only
        .address_space:  global
        .offset:         64
        .size:           8
        .value_kind:     global_buffer
      - .actual_access:  read_only
        .address_space:  global
        .offset:         72
        .size:           8
        .value_kind:     global_buffer
      - .address_space:  global
        .offset:         80
        .size:           8
        .value_kind:     global_buffer
    .group_segment_fixed_size: 0
    .kernarg_segment_align: 8
    .kernarg_segment_size: 88
    .language:       OpenCL C
    .language_version:
      - 2
      - 0
    .max_flat_workgroup_size: 112
    .name:           fft_rtc_fwd_len1680_factors_2_2_2_2_3_7_5_wgs_112_tpt_112_halfLds_dp_ip_CI_sbrr_dirReg
    .private_segment_fixed_size: 0
    .sgpr_count:     37
    .sgpr_spill_count: 0
    .symbol:         fft_rtc_fwd_len1680_factors_2_2_2_2_3_7_5_wgs_112_tpt_112_halfLds_dp_ip_CI_sbrr_dirReg.kd
    .uniform_work_group_size: 1
    .uses_dynamic_stack: false
    .vgpr_count:     188
    .vgpr_spill_count: 0
    .wavefront_size: 32
    .workgroup_processor_mode: 1
amdhsa.target:   amdgcn-amd-amdhsa--gfx1201
amdhsa.version:
  - 1
  - 2
...

	.end_amdgpu_metadata
